;; amdgpu-corpus repo=ggml-org/llama.cpp kind=compiled arch=gfx1100 opt=O3
	.text
	.amdgcn_target "amdgcn-amd-amdhsa--gfx1100"
	.amdhsa_code_object_version 6
	.section	.text._ZL15flash_attn_tileILi192ELi128ELi2ELi16ELb0EEvPKcS1_S1_S1_S1_PKiPfP15HIP_vector_typeIfLj2EEffffjfiS5_IjLj3EEiiiiiiiiiiiliiliiiiil,"axG",@progbits,_ZL15flash_attn_tileILi192ELi128ELi2ELi16ELb0EEvPKcS1_S1_S1_S1_PKiPfP15HIP_vector_typeIfLj2EEffffjfiS5_IjLj3EEiiiiiiiiiiiliiliiiiil,comdat
	.globl	_ZL15flash_attn_tileILi192ELi128ELi2ELi16ELb0EEvPKcS1_S1_S1_S1_PKiPfP15HIP_vector_typeIfLj2EEffffjfiS5_IjLj3EEiiiiiiiiiiiliiliiiiil ; -- Begin function _ZL15flash_attn_tileILi192ELi128ELi2ELi16ELb0EEvPKcS1_S1_S1_S1_PKiPfP15HIP_vector_typeIfLj2EEffffjfiS5_IjLj3EEiiiiiiiiiiiliiliiiiil
	.p2align	8
	.type	_ZL15flash_attn_tileILi192ELi128ELi2ELi16ELb0EEvPKcS1_S1_S1_S1_PKiPfP15HIP_vector_typeIfLj2EEffffjfiS5_IjLj3EEiiiiiiiiiiiliiliiiiil,@function
_ZL15flash_attn_tileILi192ELi128ELi2ELi16ELb0EEvPKcS1_S1_S1_S1_PKiPfP15HIP_vector_typeIfLj2EEffffjfiS5_IjLj3EEiiiiiiiiiiiliiliiiiil: ; @_ZL15flash_attn_tileILi192ELi128ELi2ELi16ELb0EEvPKcS1_S1_S1_S1_PKiPfP15HIP_vector_typeIfLj2EEffffjfiS5_IjLj3EEiiiiiiiiiiiliiliiiiil
; %bb.0:
	s_clause 0x1
	s_load_b128 s[24:27], s[0:1], 0x5c
	s_load_b64 s[28:29], s[0:1], 0x80
	s_mov_b64 s[30:31], 0
	s_waitcnt lgkmcnt(0)
	s_ashr_i32 s2, s27, 31
	s_delay_alu instid0(SALU_CYCLE_1) | instskip(NEXT) | instid1(SALU_CYCLE_1)
	s_lshr_b32 s2, s2, 28
	s_add_i32 s2, s27, s2
	s_delay_alu instid0(SALU_CYCLE_1) | instskip(NEXT) | instid1(SALU_CYCLE_1)
	s_ashr_i32 s2, s2, 4
	v_cvt_f32_u32_e32 v1, s2
	s_sub_i32 s4, 0, s2
	s_delay_alu instid0(VALU_DEP_1) | instskip(SKIP_2) | instid1(VALU_DEP_1)
	v_rcp_iflag_f32_e32 v1, v1
	s_waitcnt_depctr 0xfff
	v_mul_f32_e32 v1, 0x4f7ffffe, v1
	v_cvt_u32_f32_e32 v1, v1
	s_delay_alu instid0(VALU_DEP_1) | instskip(NEXT) | instid1(VALU_DEP_1)
	v_readfirstlane_b32 s3, v1
	s_mul_i32 s4, s4, s3
	s_delay_alu instid0(SALU_CYCLE_1) | instskip(NEXT) | instid1(SALU_CYCLE_1)
	s_mul_hi_u32 s4, s3, s4
	s_add_i32 s3, s3, s4
	s_delay_alu instid0(SALU_CYCLE_1) | instskip(NEXT) | instid1(SALU_CYCLE_1)
	s_mul_hi_u32 s3, s15, s3
	s_mul_i32 s4, s3, s2
	s_add_i32 s5, s3, 1
	s_sub_i32 s4, s15, s4
	s_delay_alu instid0(SALU_CYCLE_1)
	s_sub_i32 s6, s4, s2
	s_cmp_ge_u32 s4, s2
	s_cselect_b32 s3, s5, s3
	s_cselect_b32 s4, s6, s4
	s_add_i32 s5, s3, 1
	s_cmp_ge_u32 s4, s2
	s_cselect_b32 s33, s5, s3
	s_abs_i32 s2, s29
	s_abs_i32 s7, s27
	v_cvt_f32_u32_e32 v1, s2
	s_sub_i32 s4, 0, s2
	s_lshl_b32 s5, s15, 4
	s_mul_i32 s6, s33, s27
	s_delay_alu instid0(VALU_DEP_1) | instskip(SKIP_3) | instid1(VALU_DEP_1)
	v_rcp_iflag_f32_e32 v1, v1
	s_sub_i32 s52, s5, s6
	s_waitcnt_depctr 0xfff
	v_mul_f32_e32 v1, 0x4f7ffffe, v1
	v_cvt_u32_f32_e32 v1, v1
	s_delay_alu instid0(VALU_DEP_1) | instskip(NEXT) | instid1(VALU_DEP_1)
	v_readfirstlane_b32 s3, v1
	s_mul_i32 s4, s4, s3
	s_delay_alu instid0(SALU_CYCLE_1) | instskip(NEXT) | instid1(SALU_CYCLE_1)
	s_mul_hi_u32 s4, s3, s4
	s_add_i32 s3, s3, s4
	s_xor_b32 s4, s27, s29
	s_mul_hi_u32 s3, s7, s3
	s_ashr_i32 s4, s4, 31
	s_mul_i32 s5, s3, s2
	s_add_i32 s6, s3, 1
	s_sub_i32 s5, s7, s5
	s_delay_alu instid0(SALU_CYCLE_1)
	s_sub_i32 s7, s5, s2
	s_cmp_ge_u32 s5, s2
	s_cselect_b32 s3, s6, s3
	s_cselect_b32 s5, s7, s5
	s_add_i32 s6, s3, 1
	s_cmp_ge_u32 s5, s2
	s_cselect_b32 s2, s6, s3
	s_delay_alu instid0(SALU_CYCLE_1) | instskip(NEXT) | instid1(SALU_CYCLE_1)
	s_xor_b32 s2, s2, s4
	s_sub_i32 s9, s2, s4
	s_clause 0x1
	s_load_b512 s[36:51], s[0:1], 0x0
	s_load_b64 s[2:3], s[0:1], 0xb8
	s_abs_i32 s8, s9
	s_delay_alu instid0(SALU_CYCLE_1) | instskip(NEXT) | instid1(VALU_DEP_1)
	v_cvt_f32_u32_e32 v1, s8
	v_rcp_iflag_f32_e32 v1, v1
	s_waitcnt_depctr 0xfff
	v_mul_f32_e32 v1, 0x4f7ffffe, v1
	s_waitcnt lgkmcnt(0)
	s_cmp_eq_u64 s[42:43], 0
	s_delay_alu instid0(VALU_DEP_1) | instskip(NEXT) | instid1(VALU_DEP_1)
	v_cvt_u32_f32_e32 v1, v1
	v_readfirstlane_b32 s10, v1
	s_cbranch_scc1 .LBB0_2
; %bb.1:
	s_abs_i32 s2, s2
	s_abs_i32 s6, s33
	v_cvt_f32_u32_e32 v1, s2
	s_sub_i32 s5, 0, s2
	s_delay_alu instid0(VALU_DEP_1) | instskip(SKIP_2) | instid1(VALU_DEP_1)
	v_rcp_iflag_f32_e32 v1, v1
	s_waitcnt_depctr 0xfff
	v_mul_f32_e32 v1, 0x4f7ffffe, v1
	v_cvt_u32_f32_e32 v1, v1
	s_delay_alu instid0(VALU_DEP_1) | instskip(NEXT) | instid1(VALU_DEP_1)
	v_readfirstlane_b32 s4, v1
	s_mul_i32 s5, s5, s4
	s_delay_alu instid0(SALU_CYCLE_1) | instskip(NEXT) | instid1(SALU_CYCLE_1)
	s_mul_hi_u32 s5, s4, s5
	s_add_i32 s7, s4, s5
	s_load_b64 s[4:5], s[0:1], 0xc8
	s_mul_hi_u32 s7, s6, s7
	s_delay_alu instid0(SALU_CYCLE_1) | instskip(NEXT) | instid1(SALU_CYCLE_1)
	s_mul_i32 s7, s7, s2
	s_sub_i32 s6, s6, s7
	s_ashr_i32 s7, s33, 31
	s_sub_i32 s11, s6, s2
	s_cmp_ge_u32 s6, s2
	s_cselect_b32 s6, s11, s6
	s_delay_alu instid0(SALU_CYCLE_1) | instskip(SKIP_2) | instid1(SALU_CYCLE_1)
	s_sub_i32 s11, s6, s2
	s_cmp_ge_u32 s6, s2
	s_cselect_b32 s2, s11, s6
	s_xor_b32 s2, s2, s7
	s_delay_alu instid0(SALU_CYCLE_1)
	s_sub_i32 s2, s2, s7
	s_waitcnt lgkmcnt(0)
	s_mul_i32 s5, s2, s5
	s_mul_hi_u32 s6, s2, s4
	s_ashr_i32 s7, s2, 31
	s_add_i32 s5, s6, s5
	s_mul_i32 s7, s7, s4
	s_mul_i32 s2, s2, s4
	s_add_i32 s5, s5, s7
	s_add_u32 s30, s42, s2
	s_addc_u32 s31, s43, s5
.LBB0_2:
	v_bfe_u32 v6, v0, 10, 10
	s_load_b128 s[4:7], s[0:1], 0x70
	v_and_b32_e32 v13, 0x3ff, v0
	s_delay_alu instid0(VALU_DEP_2) | instskip(SKIP_2) | instid1(VALU_DEP_3)
	v_lshrrev_b32_e32 v1, 2, v6
	v_lshlrev_b32_e32 v4, 2, v6
	v_mul_u32_u24_e32 v16, 0x180, v6
	v_lshl_add_u32 v12, s13, 1, v1
	s_delay_alu instid0(VALU_DEP_3) | instskip(NEXT) | instid1(VALU_DEP_2)
	v_and_b32_e32 v26, 12, v4
	v_mul_hi_u32 v1, s24, v12
	s_waitcnt lgkmcnt(0)
	s_mul_i32 s2, s33, s6
	s_mul_i32 s6, s52, s5
	s_delay_alu instid0(VALU_DEP_1)
	v_add_nc_u32_e32 v1, v12, v1
	s_ashr_i32 s7, s2, 31
	s_add_u32 s2, s36, s2
	s_addc_u32 s7, s37, s7
	s_ashr_i32 s11, s6, 31
	v_lshrrev_b32_e32 v1, s25, v1
	s_add_u32 s2, s2, s6
	s_addc_u32 s6, s7, s11
	s_ashr_i32 s7, s4, 31
	s_ashr_i32 s17, s5, 31
	v_mul_lo_u32 v1, v1, s26
	v_alignbit_b32 v3, s7, s4, 2
	s_lshr_b32 s4, s7, 2
	s_mov_b32 s16, s5
	s_delay_alu instid0(VALU_DEP_2) | instskip(NEXT) | instid1(VALU_DEP_1)
	v_sub_nc_u32_e32 v7, v12, v1
	v_mad_u64_u32 v[1:2], null, v3, v7, 0
	v_alignbit_b32 v3, s17, s5, 2
	s_delay_alu instid0(VALU_DEP_1) | instskip(NEXT) | instid1(VALU_DEP_3)
	v_mad_u64_u32 v[8:9], null, v3, v26, 0
	v_mad_u64_u32 v[10:11], null, s4, v7, v[2:3]
	s_lshr_b32 s4, s17, 2
	s_delay_alu instid0(VALU_DEP_1) | instskip(NEXT) | instid1(VALU_DEP_1)
	v_dual_mov_b32 v3, v9 :: v_dual_mov_b32 v2, v10
	v_mad_u64_u32 v[9:10], null, s4, v26, v[3:4]
	s_delay_alu instid0(VALU_DEP_2) | instskip(SKIP_2) | instid1(VALU_DEP_2)
	v_lshlrev_b64 v[0:1], 2, v[1:2]
	v_lshlrev_b32_e32 v2, 4, v13
	s_lshr_b64 s[4:5], s[16:17], 2
	v_add_co_u32 v3, vcc_lo, s2, v0
	s_delay_alu instid0(VALU_DEP_3) | instskip(SKIP_1) | instid1(VALU_DEP_3)
	v_add_co_ci_u32_e32 v5, vcc_lo, s6, v1, vcc_lo
	v_lshlrev_b64 v[0:1], 2, v[8:9]
	v_add_co_u32 v2, vcc_lo, v3, v2
	s_delay_alu instid0(VALU_DEP_3) | instskip(SKIP_1) | instid1(VALU_DEP_2)
	v_add_co_ci_u32_e32 v3, vcc_lo, 0, v5, vcc_lo
	s_load_b32 s6, s[0:1], 0x40
	v_add_co_u32 v0, vcc_lo, v2, v0
	s_delay_alu instid0(VALU_DEP_2)
	v_add_co_ci_u32_e32 v1, vcc_lo, v3, v1, vcc_lo
	v_lshlrev_b32_e32 v5, 1, v13
	v_cmp_gt_u32_e32 vcc_lo, 16, v13
	global_load_b128 v[8:11], v[0:1], off
	s_waitcnt vmcnt(0) lgkmcnt(0)
	v_fma_mixlo_f16 v15, v10, s6, 0
	v_fma_mixlo_f16 v14, v8, s6, 0
	v_add_lshl_u32 v8, v16, v5, 2
	s_delay_alu instid0(VALU_DEP_3) | instskip(NEXT) | instid1(VALU_DEP_3)
	v_fma_mixhi_f16 v15, v11, s6, 0
	v_fma_mixhi_f16 v14, v9, s6, 0
	ds_store_b64 v8, v[14:15]
	s_and_saveexec_b32 s2, vcc_lo
	s_cbranch_execz .LBB0_4
; %bb.3:
	global_load_b128 v[14:17], v[0:1], off offset:512
	s_waitcnt vmcnt(0)
	v_fma_mixlo_f16 v1, v16, s6, 0
	v_fma_mixlo_f16 v0, v14, s6, 0
	s_delay_alu instid0(VALU_DEP_2) | instskip(NEXT) | instid1(VALU_DEP_2)
	v_fma_mixhi_f16 v1, v17, s6, 0
	v_fma_mixhi_f16 v0, v15, s6, 0
	ds_store_b64 v8, v[0:1] offset:256
.LBB0_4:
	s_or_b32 exec_lo, exec_lo, s2
	v_or_b32_e32 v14, 1, v4
	s_delay_alu instid0(VALU_DEP_1) | instskip(SKIP_1) | instid1(VALU_DEP_2)
	v_and_b32_e32 v10, 13, v14
	v_mul_u32_u24_e32 v16, 0x60, v14
	v_mad_u64_u32 v[0:1], null, s4, v10, 0
	s_delay_alu instid0(VALU_DEP_2) | instskip(NEXT) | instid1(VALU_DEP_2)
	v_add_lshl_u32 v5, v16, v5, 2
	v_mad_u64_u32 v[8:9], null, s5, v10, v[1:2]
	s_delay_alu instid0(VALU_DEP_1) | instskip(NEXT) | instid1(VALU_DEP_1)
	v_mov_b32_e32 v1, v8
	v_lshlrev_b64 v[0:1], 2, v[0:1]
	s_delay_alu instid0(VALU_DEP_1) | instskip(NEXT) | instid1(VALU_DEP_1)
	v_add_co_u32 v0, s2, v2, v0
	v_add_co_ci_u32_e64 v1, s2, v3, v1, s2
	global_load_b128 v[8:11], v[0:1], off
	s_waitcnt vmcnt(0)
	v_fma_mixlo_f16 v15, v10, s6, 0
	v_fma_mixlo_f16 v14, v8, s6, 0
	s_delay_alu instid0(VALU_DEP_2) | instskip(NEXT) | instid1(VALU_DEP_2)
	v_fma_mixhi_f16 v15, v11, s6, 0
	v_fma_mixhi_f16 v14, v9, s6, 0
	ds_store_b64 v5, v[14:15]
	s_and_saveexec_b32 s2, vcc_lo
	s_cbranch_execz .LBB0_6
; %bb.5:
	global_load_b128 v[8:11], v[0:1], off offset:512
	s_waitcnt vmcnt(0)
	v_fma_mixlo_f16 v1, v10, s6, 0
	v_fma_mixlo_f16 v0, v8, s6, 0
	s_delay_alu instid0(VALU_DEP_2) | instskip(NEXT) | instid1(VALU_DEP_2)
	v_fma_mixhi_f16 v1, v11, s6, 0
	v_fma_mixhi_f16 v0, v9, s6, 0
	ds_store_b64 v5, v[0:1] offset:256
.LBB0_6:
	s_or_b32 exec_lo, exec_lo, s2
	v_or_b32_e32 v0, 2, v4
	s_delay_alu instid0(VALU_DEP_1) | instskip(NEXT) | instid1(VALU_DEP_1)
	v_and_b32_e32 v10, 14, v0
	v_mad_u64_u32 v[0:1], null, s4, v10, 0
	s_delay_alu instid0(VALU_DEP_1) | instskip(NEXT) | instid1(VALU_DEP_1)
	v_mad_u64_u32 v[8:9], null, s5, v10, v[1:2]
	v_mov_b32_e32 v1, v8
	s_delay_alu instid0(VALU_DEP_1) | instskip(NEXT) | instid1(VALU_DEP_1)
	v_lshlrev_b64 v[0:1], 2, v[0:1]
	v_add_co_u32 v0, s2, v2, v0
	s_delay_alu instid0(VALU_DEP_1) | instskip(SKIP_4) | instid1(VALU_DEP_2)
	v_add_co_ci_u32_e64 v1, s2, v3, v1, s2
	global_load_b128 v[8:11], v[0:1], off
	s_waitcnt vmcnt(0)
	v_fma_mixlo_f16 v15, v10, s6, 0
	v_fma_mixlo_f16 v14, v8, s6, 0
	v_fma_mixhi_f16 v15, v11, s6, 0
	s_delay_alu instid0(VALU_DEP_2)
	v_fma_mixhi_f16 v14, v9, s6, 0
	ds_store_b64 v5, v[14:15] offset:384
	s_and_saveexec_b32 s2, vcc_lo
	s_cbranch_execz .LBB0_8
; %bb.7:
	global_load_b128 v[8:11], v[0:1], off offset:512
	s_waitcnt vmcnt(0)
	v_fma_mixlo_f16 v1, v10, s6, 0
	v_fma_mixlo_f16 v0, v8, s6, 0
	s_delay_alu instid0(VALU_DEP_2) | instskip(NEXT) | instid1(VALU_DEP_2)
	v_fma_mixhi_f16 v1, v11, s6, 0
	v_fma_mixhi_f16 v0, v9, s6, 0
	ds_store_b64 v5, v[0:1] offset:640
.LBB0_8:
	s_or_b32 exec_lo, exec_lo, s2
	v_or_b32_e32 v0, 3, v4
	s_delay_alu instid0(VALU_DEP_1) | instskip(NEXT) | instid1(VALU_DEP_1)
	v_and_b32_e32 v10, 15, v0
	v_mad_u64_u32 v[0:1], null, s4, v10, 0
	s_delay_alu instid0(VALU_DEP_1) | instskip(NEXT) | instid1(VALU_DEP_1)
	v_mad_u64_u32 v[8:9], null, s5, v10, v[1:2]
	v_mov_b32_e32 v1, v8
	s_delay_alu instid0(VALU_DEP_1) | instskip(NEXT) | instid1(VALU_DEP_1)
	v_lshlrev_b64 v[0:1], 2, v[0:1]
	v_add_co_u32 v0, s2, v2, v0
	s_delay_alu instid0(VALU_DEP_1) | instskip(SKIP_4) | instid1(VALU_DEP_2)
	v_add_co_ci_u32_e64 v1, s2, v3, v1, s2
	global_load_b128 v[8:11], v[0:1], off
	s_waitcnt vmcnt(0)
	v_fma_mixlo_f16 v3, v10, s6, 0
	v_fma_mixlo_f16 v2, v8, s6, 0
	v_fma_mixhi_f16 v3, v11, s6, 0
	s_delay_alu instid0(VALU_DEP_2)
	v_fma_mixhi_f16 v2, v9, s6, 0
	ds_store_b64 v5, v[2:3] offset:768
	s_and_saveexec_b32 s2, vcc_lo
	s_cbranch_execz .LBB0_10
; %bb.9:
	global_load_b128 v[0:3], v[0:1], off offset:512
	s_waitcnt vmcnt(0)
	v_fma_mixlo_f16 v9, v2, s6, 0
	v_fma_mixlo_f16 v8, v0, s6, 0
	s_delay_alu instid0(VALU_DEP_2) | instskip(NEXT) | instid1(VALU_DEP_2)
	v_fma_mixhi_f16 v9, v3, s6, 0
	v_fma_mixhi_f16 v8, v1, s6, 0
	ds_store_b64 v5, v[8:9] offset:1024
.LBB0_10:
	s_or_b32 exec_lo, exec_lo, s2
	s_cmp_eq_u64 s[46:47], 0
	s_waitcnt lgkmcnt(0)
	s_barrier
	buffer_gl0_inv
	s_cbranch_scc1 .LBB0_12
; %bb.11:
	s_load_b32 s2, s[0:1], 0xd0
	s_mov_b32 s5, 0
	s_waitcnt lgkmcnt(0)
	s_mul_i32 s2, s2, s33
	s_delay_alu instid0(SALU_CYCLE_1) | instskip(NEXT) | instid1(SALU_CYCLE_1)
	s_add_i32 s4, s2, s13
	s_lshl_b64 s[4:5], s[4:5], 2
	s_delay_alu instid0(SALU_CYCLE_1)
	s_add_u32 s4, s46, s4
	s_addc_u32 s5, s47, s5
	s_load_b32 s28, s[4:5], 0x0
.LBB0_12:
	v_mbcnt_lo_u32_b32 v11, -1, 0
	s_lshl_b32 s29, s14, 6
	s_waitcnt lgkmcnt(0)
	s_cmp_lt_i32 s29, s28
	s_cbranch_scc1 .LBB0_14
; %bb.13:
	v_mbcnt_lo_u32_b32 v8, -1, 0
	v_mov_b32_e32 v5, 32
	s_mov_b32 s2, 0
	s_mov_b32 s4, 0xfeffffff
	s_delay_alu instid0(VALU_DEP_2)
	v_xor_b32_e32 v32, 16, v8
	v_xor_b32_e32 v31, 8, v8
	;; [unrolled: 1-line block ×5, first 2 shown]
	s_branch .LBB0_15
.LBB0_14:
	s_mov_b32 s2, -1
                                        ; implicit-def: $sgpr4
                                        ; implicit-def: $vgpr8
                                        ; implicit-def: $vgpr5
                                        ; implicit-def: $vgpr32
                                        ; implicit-def: $vgpr31
                                        ; implicit-def: $vgpr30
                                        ; implicit-def: $vgpr29
                                        ; implicit-def: $vgpr28
.LBB0_15:
	s_delay_alu instid0(SALU_CYCLE_1) | instskip(SKIP_3) | instid1(VALU_DEP_4)
	v_cndmask_b32_e64 v0, 0, 1, s2
	v_dual_mov_b32 v3, s4 :: v_dual_mov_b32 v2, s4
	v_lshlrev_b32_e32 v27, 2, v13
	v_dual_mov_b32 v33, s2 :: v_dual_mov_b32 v34, s2
	v_cmp_ne_u32_e32 vcc_lo, 1, v0
	v_dual_mov_b32 v55, s2 :: v_dual_mov_b32 v20, s2
	v_dual_mov_b32 v1, s4 :: v_dual_mov_b32 v56, s2
	;; [unrolled: 1-line block ×6, first 2 shown]
	s_cbranch_vccnz .LBB0_19
; %bb.16:
	s_clause 0x1
	s_load_b128 s[4:7], s[0:1], 0x98
	s_load_b64 s[12:13], s[0:1], 0x8c
	s_sub_i32 s2, 0, s8
	v_lshrrev_b32_e32 v0, 3, v13
	v_and_b32_e32 v3, 28, v27
	s_mul_i32 s2, s2, s10
	s_abs_i32 s11, s52
	s_mul_hi_u32 s2, s10, s2
	v_dual_mov_b32 v49, 0 :: v_dual_add_nc_u32 v0, v0, v4
	v_dual_mov_b32 v50, 0 :: v_dual_lshlrev_b32 v1, 2, v3
	s_add_i32 s10, s10, s2
	s_ashr_i32 s2, s3, 1
	s_mul_hi_u32 s3, s11, s10
	s_ashr_i32 s10, s33, 31
	v_mad_u32_u24 v4, 0x90, v0, v1
	s_ashr_i32 s15, s52, 31
	s_ashr_i32 s9, s9, 31
	s_load_b64 s[16:17], s[0:1], 0xa8
	s_waitcnt lgkmcnt(0)
	s_ashr_i32 s36, s6, 2
	s_ashr_i32 s37, s12, 2
	s_mul_i32 s5, s33, s5
	s_mul_hi_u32 s6, s33, s4
	s_mul_i32 s12, s10, s4
	s_add_i32 s5, s6, s5
	v_mul_lo_u32 v1, s37, v0
	v_lshrrev_b32_e32 v0, 4, v13
	s_mul_i32 s4, s33, s4
	s_mul_i32 s18, s3, s8
	s_add_i32 s5, s5, s12
	s_add_u32 s4, s38, s4
	s_addc_u32 s5, s39, s5
	s_xor_b32 s6, s15, s9
	s_sub_i32 s9, s11, s18
	v_lshl_add_u32 v0, v6, 1, v0
	s_add_i32 s11, s3, 1
	s_sub_i32 s12, s9, s8
	s_cmp_ge_u32 s9, s8
	v_dual_mov_b32 v51, 0 :: v_dual_and_b32 v18, 60, v27
	s_cselect_b32 s3, s11, s3
	s_cselect_b32 s9, s12, s9
	v_mul_lo_u32 v14, s36, v0
	s_add_i32 s11, s3, 1
	s_cmp_ge_u32 s9, s8
	v_lshl_add_u32 v8, s37, 5, v1
	s_cselect_b32 s3, s11, s3
	v_dual_mov_b32 v52, 0 :: v_dual_add_nc_u32 v35, 0x3000, v4
	s_xor_b32 s3, s3, s6
	s_delay_alu instid0(VALU_DEP_3)
	v_lshl_add_u32 v16, s36, 4, v14
	s_sub_i32 s3, s3, s6
	v_dual_mov_b32 v53, 0 :: v_dual_add_nc_u32 v36, 0x4200, v4
	v_dual_mov_b32 v55, 0 :: v_dual_lshlrev_b32 v4, 2, v18
	s_mul_i32 s6, s3, s13
	s_mul_i32 s8, s33, s17
	s_mul_hi_u32 s9, s33, s16
	s_ashr_i32 s12, s6, 31
	s_add_u32 s38, s4, s6
	v_ashrrev_i32_e32 v2, 31, v1
	v_ashrrev_i32_e32 v9, 31, v8
	;; [unrolled: 1-line block ×4, first 2 shown]
	s_mul_i32 s10, s10, s16
	s_addc_u32 s39, s5, s12
	s_add_i32 s4, s9, s8
	v_lshl_or_b32 v0, v0, 8, v4
	v_lshl_add_u32 v39, v6, 9, 0x5400
	v_dual_mov_b32 v54, 0 :: v_dual_lshlrev_b32 v19, 3, v13
	s_mul_i32 s11, s33, s16
	s_add_i32 s4, s4, s10
	s_mul_i32 s3, s3, s7
	v_mad_u64_u32 v[4:5], null, v7, s2, v[13:14]
	s_add_u32 s5, s40, s11
	s_addc_u32 s4, s41, s4
	s_ashr_i32 s6, s3, 31
	v_mul_u32_u24_e32 v38, 0x600, v6
	v_lshlrev_b64 v[5:6], 2, v[1:2]
	v_lshlrev_b64 v[7:8], 2, v[8:9]
	;; [unrolled: 1-line block ×4, first 2 shown]
	s_add_u32 s40, s5, s3
	v_mul_u32_u24_e32 v37, 0x90, v13
	v_dual_mov_b32 v21, 0 :: v_dual_add_nc_u32 v40, 0x3000, v0
	v_dual_mov_b32 v56, 0 :: v_dual_add_nc_u32 v41, 0x4000, v0
	v_mov_b32_e32 v0, 0xfeffffff
	v_dual_mov_b32 v1, 0xfeffffff :: v_dual_lshlrev_b32 v42, 2, v3
	v_xor_b32_e32 v32, 16, v11
	v_xor_b32_e32 v31, 8, v11
	;; [unrolled: 1-line block ×5, first 2 shown]
	v_dual_mov_b32 v2, 0xfeffffff :: v_dual_add_nc_u32 v43, v39, v19
	v_dual_mov_b32 v3, 0xfeffffff :: v_dual_lshlrev_b32 v44, 2, v18
	v_dual_mov_b32 v20, 0 :: v_dual_add_nc_u32 v45, 0x3000, v19
	v_dual_mov_b32 v33, 0 :: v_dual_add_nc_u32 v46, 0x3800, v19
	;; [unrolled: 1-line block ×3, first 2 shown]
	v_add_nc_u32_e32 v48, 0x4800, v19
	s_addc_u32 s41, s4, s6
	s_add_u32 s34, s0, 0xd0
	s_addc_u32 s35, s1, 0
.LBB0_17:                               ; =>This Inner Loop Header: Depth=1
	s_mul_hi_i32 s7, s29, s37
	s_mul_i32 s6, s29, s37
	v_cmp_gt_i32_e64 s3, 32, v30
	v_cmp_gt_i32_e64 s4, 32, v29
	;; [unrolled: 1-line block ×3, first 2 shown]
	v_dual_mov_b32 v61, v1 :: v_dual_mov_b32 v62, v0
	v_add_nc_u32_e32 v0, s29, v4
	v_cmp_gt_i32_e64 s2, 32, v31
	v_cmp_gt_i32_e32 vcc_lo, 32, v32
	s_lshl_b64 s[6:7], s[6:7], 2
	s_mul_hi_i32 s9, s29, s36
	s_mul_i32 s8, s29, s36
	s_add_u32 s6, s38, s6
	v_cndmask_b32_e64 v16, v11, v30, s3
	v_cndmask_b32_e64 v17, v11, v29, s4
	;; [unrolled: 1-line block ×3, first 2 shown]
	s_addc_u32 s3, s39, s7
	s_lshl_b64 s[4:5], s[8:9], 2
	v_dual_mov_b32 v57, v21 :: v_dual_mov_b32 v58, v20
	v_dual_mov_b32 v59, v3 :: v_dual_mov_b32 v60, v2
	v_cndmask_b32_e64 v3, v11, v31, s2
	v_ashrrev_i32_e32 v1, 31, v0
	v_add_co_u32 v20, s2, s6, v5
	v_dual_cndmask_b32 v2, v11, v32 :: v_dual_lshlrev_b32 v71, 2, v18
	v_add_co_u32 v19, vcc_lo, s6, v7
	s_add_u32 s4, s40, s4
	v_add_co_ci_u32_e64 v21, s2, s3, v6, s2
	v_add_co_ci_u32_e32 v23, vcc_lo, s3, v8, vcc_lo
	s_addc_u32 s3, s41, s5
	v_add_co_u32 v77, s2, s4, v9
	v_add_co_u32 v76, vcc_lo, s4, v14
	v_lshlrev_b32_e32 v73, 2, v16
	v_lshlrev_b32_e32 v72, 2, v17
	v_lshlrev_b64 v[16:17], 1, v[0:1]
	v_add_co_ci_u32_e64 v1, s2, s3, v10, s2
	v_add_co_ci_u32_e32 v18, vcc_lo, s3, v15, vcc_lo
	v_add_co_u32 v24, s2, v20, v42
	v_add_co_u32 v22, vcc_lo, v19, v42
	v_add_co_ci_u32_e64 v25, s2, 0, v21, s2
	v_add_co_ci_u32_e32 v23, vcc_lo, 0, v23, vcc_lo
	v_lshlrev_b32_e32 v75, 2, v2
	v_add_co_u32 v0, vcc_lo, v76, v44
	v_add_co_u32 v2, s2, v77, v44
	s_clause 0x1
	global_load_b128 v[76:79], v[24:25], off
	global_load_b128 v[80:83], v[22:23], off
	s_or_b32 s6, s29, 32
	v_lshlrev_b32_e32 v74, 2, v3
	s_mul_hi_i32 s5, s6, s36
	s_mul_i32 s4, s6, s36
	v_add_co_ci_u32_e64 v3, s2, 0, v1, s2
	s_lshl_b64 s[4:5], s[4:5], 2
	v_add_co_ci_u32_e32 v1, vcc_lo, 0, v18, vcc_lo
	s_add_u32 s3, s40, s4
	s_addc_u32 s4, s41, s5
	v_add_co_u32 v20, vcc_lo, s30, v16
	v_add_co_u32 v18, s2, s3, v9
	v_add_co_u32 v16, s3, s3, v14
	v_add_co_ci_u32_e32 v21, vcc_lo, s31, v17, vcc_lo
	v_add_co_ci_u32_e64 v17, vcc_lo, s4, v10, s2
	v_add_co_ci_u32_e64 v84, vcc_lo, s4, v15, s3
	s_delay_alu instid0(VALU_DEP_4) | instskip(SKIP_1) | instid1(VALU_DEP_1)
	v_add_co_u32 v16, vcc_lo, v16, v44
	v_add_co_u32 v18, s2, v18, v44
	v_add_co_ci_u32_e64 v19, s2, 0, v17, s2
	s_delay_alu instid0(VALU_DEP_4)
	v_add_co_ci_u32_e32 v17, vcc_lo, 0, v84, vcc_lo
	v_dual_mov_b32 v63, 0 :: v_dual_mov_b32 v64, 0
	v_dual_mov_b32 v65, 0 :: v_dual_mov_b32 v66, 0
	;; [unrolled: 1-line block ×4, first 2 shown]
	s_waitcnt vmcnt(1)
	ds_store_b128 v35, v[76:79]
	s_waitcnt vmcnt(0)
	ds_store_b128 v36, v[80:83]
	s_waitcnt lgkmcnt(0)
	s_barrier
	buffer_gl0_inv
	ds_load_b128 v[76:79], v37 offset:12288
	ds_load_b128 v[80:83], v38
	ds_load_b128 v[84:87], v38 offset:384
	ds_load_b128 v[88:91], v38 offset:768
	;; [unrolled: 1-line block ×4, first 2 shown]
	s_waitcnt lgkmcnt(4)
	;;#ASMSTART
	v_dot2_f32_f16 v63, v76, v80, v63
	;;#ASMEND
	;;#ASMSTART
	v_dot2_f32_f16 v63, v77, v81, v63
	;;#ASMEND
	;;#ASMSTART
	v_dot2_f32_f16 v63, v78, v82, v63
	;;#ASMEND
	;;#ASMSTART
	v_dot2_f32_f16 v63, v79, v83, v63
	;;#ASMEND
	s_waitcnt lgkmcnt(3)
	;;#ASMSTART
	v_dot2_f32_f16 v64, v76, v84, v64
	;;#ASMEND
	;;#ASMSTART
	v_dot2_f32_f16 v64, v77, v85, v64
	;;#ASMEND
	;;#ASMSTART
	v_dot2_f32_f16 v64, v78, v86, v64
	;;#ASMEND
	;;#ASMSTART
	v_dot2_f32_f16 v64, v79, v87, v64
	;;#ASMEND
	;; [unrolled: 13-line block ×5, first 2 shown]
	;;#ASMSTART
	v_dot2_f32_f16 v68, v96, v84, v68
	;;#ASMEND
	;;#ASMSTART
	v_dot2_f32_f16 v68, v97, v85, v68
	;;#ASMEND
	;; [unrolled: 3-line block ×12, first 2 shown]
	ds_load_b128 v[76:79], v37 offset:12304
	ds_load_b128 v[80:83], v38 offset:16
	;; [unrolled: 1-line block ×6, first 2 shown]
	s_waitcnt lgkmcnt(4)
	;;#ASMSTART
	v_dot2_f32_f16 v63, v76, v80, v63
	;;#ASMEND
	;;#ASMSTART
	v_dot2_f32_f16 v63, v77, v81, v63
	;;#ASMEND
	;;#ASMSTART
	v_dot2_f32_f16 v63, v78, v82, v63
	;;#ASMEND
	;;#ASMSTART
	v_dot2_f32_f16 v63, v79, v83, v63
	;;#ASMEND
	s_waitcnt lgkmcnt(3)
	;;#ASMSTART
	v_dot2_f32_f16 v64, v76, v84, v64
	;;#ASMEND
	;;#ASMSTART
	v_dot2_f32_f16 v64, v77, v85, v64
	;;#ASMEND
	;;#ASMSTART
	v_dot2_f32_f16 v64, v78, v86, v64
	;;#ASMEND
	;;#ASMSTART
	v_dot2_f32_f16 v64, v79, v87, v64
	;;#ASMEND
	;; [unrolled: 13-line block ×5, first 2 shown]
	;;#ASMSTART
	v_dot2_f32_f16 v68, v96, v84, v68
	;;#ASMEND
	;;#ASMSTART
	v_dot2_f32_f16 v68, v97, v85, v68
	;;#ASMEND
	;; [unrolled: 3-line block ×12, first 2 shown]
	ds_load_b128 v[76:79], v37 offset:12320
	ds_load_b128 v[80:83], v38 offset:32
	;; [unrolled: 1-line block ×6, first 2 shown]
	s_waitcnt lgkmcnt(4)
	;;#ASMSTART
	v_dot2_f32_f16 v63, v76, v80, v63
	;;#ASMEND
	;;#ASMSTART
	v_dot2_f32_f16 v63, v77, v81, v63
	;;#ASMEND
	;;#ASMSTART
	v_dot2_f32_f16 v63, v78, v82, v63
	;;#ASMEND
	;;#ASMSTART
	v_dot2_f32_f16 v63, v79, v83, v63
	;;#ASMEND
	s_waitcnt lgkmcnt(3)
	;;#ASMSTART
	v_dot2_f32_f16 v64, v76, v84, v64
	;;#ASMEND
	;;#ASMSTART
	v_dot2_f32_f16 v64, v77, v85, v64
	;;#ASMEND
	;;#ASMSTART
	v_dot2_f32_f16 v64, v78, v86, v64
	;;#ASMEND
	;;#ASMSTART
	v_dot2_f32_f16 v64, v79, v87, v64
	;;#ASMEND
	;; [unrolled: 13-line block ×5, first 2 shown]
	;;#ASMSTART
	v_dot2_f32_f16 v68, v96, v84, v68
	;;#ASMEND
	;;#ASMSTART
	v_dot2_f32_f16 v68, v97, v85, v68
	;;#ASMEND
	;; [unrolled: 3-line block ×12, first 2 shown]
	ds_load_b128 v[76:79], v37 offset:12336
	ds_load_b128 v[80:83], v38 offset:48
	;; [unrolled: 1-line block ×6, first 2 shown]
	s_waitcnt lgkmcnt(4)
	;;#ASMSTART
	v_dot2_f32_f16 v63, v76, v80, v63
	;;#ASMEND
	;;#ASMSTART
	v_dot2_f32_f16 v63, v77, v81, v63
	;;#ASMEND
	;;#ASMSTART
	v_dot2_f32_f16 v63, v78, v82, v63
	;;#ASMEND
	;;#ASMSTART
	v_dot2_f32_f16 v63, v79, v83, v63
	;;#ASMEND
	s_waitcnt lgkmcnt(3)
	;;#ASMSTART
	v_dot2_f32_f16 v64, v76, v84, v64
	;;#ASMEND
	;;#ASMSTART
	v_dot2_f32_f16 v64, v77, v85, v64
	;;#ASMEND
	;;#ASMSTART
	v_dot2_f32_f16 v64, v78, v86, v64
	;;#ASMEND
	;;#ASMSTART
	v_dot2_f32_f16 v64, v79, v87, v64
	;;#ASMEND
	;; [unrolled: 13-line block ×5, first 2 shown]
	;;#ASMSTART
	v_dot2_f32_f16 v68, v96, v84, v68
	;;#ASMEND
	;;#ASMSTART
	v_dot2_f32_f16 v68, v97, v85, v68
	;;#ASMEND
	;; [unrolled: 3-line block ×12, first 2 shown]
	ds_load_b128 v[76:79], v37 offset:12352
	ds_load_b128 v[80:83], v38 offset:64
	;; [unrolled: 1-line block ×6, first 2 shown]
	s_waitcnt lgkmcnt(4)
	;;#ASMSTART
	v_dot2_f32_f16 v63, v76, v80, v63
	;;#ASMEND
	;;#ASMSTART
	v_dot2_f32_f16 v63, v77, v81, v63
	;;#ASMEND
	;;#ASMSTART
	v_dot2_f32_f16 v63, v78, v82, v63
	;;#ASMEND
	;;#ASMSTART
	v_dot2_f32_f16 v63, v79, v83, v63
	;;#ASMEND
	s_waitcnt lgkmcnt(3)
	;;#ASMSTART
	v_dot2_f32_f16 v64, v76, v84, v64
	;;#ASMEND
	;;#ASMSTART
	v_dot2_f32_f16 v64, v77, v85, v64
	;;#ASMEND
	;;#ASMSTART
	v_dot2_f32_f16 v64, v78, v86, v64
	;;#ASMEND
	;;#ASMSTART
	v_dot2_f32_f16 v64, v79, v87, v64
	;;#ASMEND
	;; [unrolled: 13-line block ×5, first 2 shown]
	;;#ASMSTART
	v_dot2_f32_f16 v68, v96, v84, v68
	;;#ASMEND
	;;#ASMSTART
	v_dot2_f32_f16 v68, v97, v85, v68
	;;#ASMEND
	;; [unrolled: 3-line block ×12, first 2 shown]
	ds_load_b128 v[76:79], v37 offset:12368
	ds_load_b128 v[80:83], v38 offset:80
	ds_load_b128 v[84:87], v38 offset:464
	ds_load_b128 v[88:91], v38 offset:848
	ds_load_b128 v[92:95], v38 offset:1232
	ds_load_b128 v[96:99], v37 offset:16976
	s_waitcnt lgkmcnt(4)
	;;#ASMSTART
	v_dot2_f32_f16 v63, v76, v80, v63
	;;#ASMEND
	;;#ASMSTART
	v_dot2_f32_f16 v63, v77, v81, v63
	;;#ASMEND
	;;#ASMSTART
	v_dot2_f32_f16 v63, v78, v82, v63
	;;#ASMEND
	;;#ASMSTART
	v_dot2_f32_f16 v63, v79, v83, v63
	;;#ASMEND
	s_waitcnt lgkmcnt(3)
	;;#ASMSTART
	v_dot2_f32_f16 v64, v76, v84, v64
	;;#ASMEND
	;;#ASMSTART
	v_dot2_f32_f16 v64, v77, v85, v64
	;;#ASMEND
	;;#ASMSTART
	v_dot2_f32_f16 v64, v78, v86, v64
	;;#ASMEND
	;;#ASMSTART
	v_dot2_f32_f16 v64, v79, v87, v64
	;;#ASMEND
	;; [unrolled: 13-line block ×5, first 2 shown]
	;;#ASMSTART
	v_dot2_f32_f16 v68, v96, v84, v68
	;;#ASMEND
	;;#ASMSTART
	v_dot2_f32_f16 v68, v97, v85, v68
	;;#ASMEND
	;; [unrolled: 3-line block ×12, first 2 shown]
	ds_load_b128 v[76:79], v37 offset:12384
	ds_load_b128 v[80:83], v38 offset:96
	;; [unrolled: 1-line block ×6, first 2 shown]
	s_waitcnt lgkmcnt(4)
	;;#ASMSTART
	v_dot2_f32_f16 v63, v76, v80, v63
	;;#ASMEND
	;;#ASMSTART
	v_dot2_f32_f16 v63, v77, v81, v63
	;;#ASMEND
	;;#ASMSTART
	v_dot2_f32_f16 v63, v78, v82, v63
	;;#ASMEND
	;;#ASMSTART
	v_dot2_f32_f16 v63, v79, v83, v63
	;;#ASMEND
	s_waitcnt lgkmcnt(3)
	;;#ASMSTART
	v_dot2_f32_f16 v64, v76, v84, v64
	;;#ASMEND
	;;#ASMSTART
	v_dot2_f32_f16 v64, v77, v85, v64
	;;#ASMEND
	;;#ASMSTART
	v_dot2_f32_f16 v64, v78, v86, v64
	;;#ASMEND
	;;#ASMSTART
	v_dot2_f32_f16 v64, v79, v87, v64
	;;#ASMEND
	;; [unrolled: 13-line block ×5, first 2 shown]
	;;#ASMSTART
	v_dot2_f32_f16 v68, v96, v84, v68
	;;#ASMEND
	;;#ASMSTART
	v_dot2_f32_f16 v68, v97, v85, v68
	;;#ASMEND
	;; [unrolled: 3-line block ×12, first 2 shown]
	ds_load_b128 v[76:79], v37 offset:12400
	ds_load_b128 v[80:83], v38 offset:112
	;; [unrolled: 1-line block ×6, first 2 shown]
	s_waitcnt lgkmcnt(4)
	;;#ASMSTART
	v_dot2_f32_f16 v63, v76, v80, v63
	;;#ASMEND
	;;#ASMSTART
	v_dot2_f32_f16 v63, v77, v81, v63
	;;#ASMEND
	;;#ASMSTART
	v_dot2_f32_f16 v63, v78, v82, v63
	;;#ASMEND
	;;#ASMSTART
	v_dot2_f32_f16 v63, v79, v83, v63
	;;#ASMEND
	s_waitcnt lgkmcnt(3)
	;;#ASMSTART
	v_dot2_f32_f16 v64, v76, v84, v64
	;;#ASMEND
	;;#ASMSTART
	v_dot2_f32_f16 v64, v77, v85, v64
	;;#ASMEND
	;;#ASMSTART
	v_dot2_f32_f16 v64, v78, v86, v64
	;;#ASMEND
	;;#ASMSTART
	v_dot2_f32_f16 v64, v79, v87, v64
	;;#ASMEND
	;; [unrolled: 13-line block ×5, first 2 shown]
	;;#ASMSTART
	v_dot2_f32_f16 v68, v96, v84, v68
	;;#ASMEND
	;;#ASMSTART
	v_dot2_f32_f16 v68, v97, v85, v68
	;;#ASMEND
	;;#ASMSTART
	v_dot2_f32_f16 v68, v98, v86, v68
	;;#ASMEND
	;;#ASMSTART
	v_dot2_f32_f16 v68, v99, v87, v68
	;;#ASMEND
	;;#ASMSTART
	v_dot2_f32_f16 v69, v96, v88, v69
	;;#ASMEND
	;;#ASMSTART
	v_dot2_f32_f16 v69, v97, v89, v69
	;;#ASMEND
	;;#ASMSTART
	v_dot2_f32_f16 v69, v98, v90, v69
	;;#ASMEND
	;;#ASMSTART
	v_dot2_f32_f16 v69, v99, v91, v69
	;;#ASMEND
	;;#ASMSTART
	v_dot2_f32_f16 v70, v96, v92, v70
	;;#ASMEND
	;;#ASMSTART
	v_dot2_f32_f16 v70, v97, v93, v70
	;;#ASMEND
	;;#ASMSTART
	v_dot2_f32_f16 v70, v98, v94, v70
	;;#ASMEND
	;;#ASMSTART
	v_dot2_f32_f16 v70, v99, v95, v70
	;;#ASMEND
	s_barrier
	buffer_gl0_inv
	s_clause 0x1
	global_load_b128 v[76:79], v[24:25], off offset:128
	global_load_b128 v[80:83], v[22:23], off offset:128
	s_waitcnt vmcnt(1)
	ds_store_b128 v35, v[76:79]
	s_waitcnt vmcnt(0)
	ds_store_b128 v36, v[80:83]
	s_waitcnt lgkmcnt(0)
	s_barrier
	buffer_gl0_inv
	ds_load_b128 v[76:79], v37 offset:12288
	ds_load_b128 v[80:83], v38 offset:128
	;; [unrolled: 1-line block ×6, first 2 shown]
	s_waitcnt lgkmcnt(4)
	;;#ASMSTART
	v_dot2_f32_f16 v63, v76, v80, v63
	;;#ASMEND
	;;#ASMSTART
	v_dot2_f32_f16 v63, v77, v81, v63
	;;#ASMEND
	;;#ASMSTART
	v_dot2_f32_f16 v63, v78, v82, v63
	;;#ASMEND
	;;#ASMSTART
	v_dot2_f32_f16 v63, v79, v83, v63
	;;#ASMEND
	s_waitcnt lgkmcnt(3)
	;;#ASMSTART
	v_dot2_f32_f16 v64, v76, v84, v64
	;;#ASMEND
	;;#ASMSTART
	v_dot2_f32_f16 v64, v77, v85, v64
	;;#ASMEND
	;;#ASMSTART
	v_dot2_f32_f16 v64, v78, v86, v64
	;;#ASMEND
	;;#ASMSTART
	v_dot2_f32_f16 v64, v79, v87, v64
	;;#ASMEND
	;; [unrolled: 13-line block ×5, first 2 shown]
	;;#ASMSTART
	v_dot2_f32_f16 v68, v96, v84, v68
	;;#ASMEND
	;;#ASMSTART
	v_dot2_f32_f16 v68, v97, v85, v68
	;;#ASMEND
	;; [unrolled: 3-line block ×12, first 2 shown]
	ds_load_b128 v[76:79], v37 offset:12304
	ds_load_b128 v[80:83], v38 offset:144
	;; [unrolled: 1-line block ×6, first 2 shown]
	s_waitcnt lgkmcnt(4)
	;;#ASMSTART
	v_dot2_f32_f16 v63, v76, v80, v63
	;;#ASMEND
	;;#ASMSTART
	v_dot2_f32_f16 v63, v77, v81, v63
	;;#ASMEND
	;;#ASMSTART
	v_dot2_f32_f16 v63, v78, v82, v63
	;;#ASMEND
	;;#ASMSTART
	v_dot2_f32_f16 v63, v79, v83, v63
	;;#ASMEND
	s_waitcnt lgkmcnt(3)
	;;#ASMSTART
	v_dot2_f32_f16 v64, v76, v84, v64
	;;#ASMEND
	;;#ASMSTART
	v_dot2_f32_f16 v64, v77, v85, v64
	;;#ASMEND
	;;#ASMSTART
	v_dot2_f32_f16 v64, v78, v86, v64
	;;#ASMEND
	;;#ASMSTART
	v_dot2_f32_f16 v64, v79, v87, v64
	;;#ASMEND
	s_waitcnt lgkmcnt(2)
	;;#ASMSTART
	v_dot2_f32_f16 v65, v76, v88, v65
	;;#ASMEND
	;;#ASMSTART
	v_dot2_f32_f16 v65, v77, v89, v65
	;;#ASMEND
	;;#ASMSTART
	v_dot2_f32_f16 v65, v78, v90, v65
	;;#ASMEND
	;;#ASMSTART
	v_dot2_f32_f16 v65, v79, v91, v65
	;;#ASMEND
	s_waitcnt lgkmcnt(1)
	;;#ASMSTART
	v_dot2_f32_f16 v66, v76, v92, v66
	;;#ASMEND
	;;#ASMSTART
	v_dot2_f32_f16 v66, v77, v93, v66
	;;#ASMEND
	;;#ASMSTART
	v_dot2_f32_f16 v66, v78, v94, v66
	;;#ASMEND
	;;#ASMSTART
	v_dot2_f32_f16 v66, v79, v95, v66
	;;#ASMEND
	s_waitcnt lgkmcnt(0)
	;;#ASMSTART
	v_dot2_f32_f16 v67, v96, v80, v67
	;;#ASMEND
	;;#ASMSTART
	v_dot2_f32_f16 v67, v97, v81, v67
	;;#ASMEND
	;;#ASMSTART
	v_dot2_f32_f16 v67, v98, v82, v67
	;;#ASMEND
	;;#ASMSTART
	v_dot2_f32_f16 v67, v99, v83, v67
	;;#ASMEND
	;;#ASMSTART
	v_dot2_f32_f16 v68, v96, v84, v68
	;;#ASMEND
	;;#ASMSTART
	v_dot2_f32_f16 v68, v97, v85, v68
	;;#ASMEND
	;;#ASMSTART
	v_dot2_f32_f16 v68, v98, v86, v68
	;;#ASMEND
	;;#ASMSTART
	v_dot2_f32_f16 v68, v99, v87, v68
	;;#ASMEND
	;;#ASMSTART
	v_dot2_f32_f16 v69, v96, v88, v69
	;;#ASMEND
	;;#ASMSTART
	v_dot2_f32_f16 v69, v97, v89, v69
	;;#ASMEND
	;;#ASMSTART
	v_dot2_f32_f16 v69, v98, v90, v69
	;;#ASMEND
	;;#ASMSTART
	v_dot2_f32_f16 v69, v99, v91, v69
	;;#ASMEND
	;;#ASMSTART
	v_dot2_f32_f16 v70, v96, v92, v70
	;;#ASMEND
	;;#ASMSTART
	v_dot2_f32_f16 v70, v97, v93, v70
	;;#ASMEND
	;;#ASMSTART
	v_dot2_f32_f16 v70, v98, v94, v70
	;;#ASMEND
	;;#ASMSTART
	v_dot2_f32_f16 v70, v99, v95, v70
	;;#ASMEND
	ds_load_b128 v[76:79], v37 offset:12320
	ds_load_b128 v[80:83], v38 offset:160
	;; [unrolled: 1-line block ×6, first 2 shown]
	s_waitcnt lgkmcnt(4)
	;;#ASMSTART
	v_dot2_f32_f16 v63, v76, v80, v63
	;;#ASMEND
	;;#ASMSTART
	v_dot2_f32_f16 v63, v77, v81, v63
	;;#ASMEND
	;;#ASMSTART
	v_dot2_f32_f16 v63, v78, v82, v63
	;;#ASMEND
	;;#ASMSTART
	v_dot2_f32_f16 v63, v79, v83, v63
	;;#ASMEND
	s_waitcnt lgkmcnt(3)
	;;#ASMSTART
	v_dot2_f32_f16 v64, v76, v84, v64
	;;#ASMEND
	;;#ASMSTART
	v_dot2_f32_f16 v64, v77, v85, v64
	;;#ASMEND
	;;#ASMSTART
	v_dot2_f32_f16 v64, v78, v86, v64
	;;#ASMEND
	;;#ASMSTART
	v_dot2_f32_f16 v64, v79, v87, v64
	;;#ASMEND
	;; [unrolled: 13-line block ×5, first 2 shown]
	;;#ASMSTART
	v_dot2_f32_f16 v68, v96, v84, v68
	;;#ASMEND
	;;#ASMSTART
	v_dot2_f32_f16 v68, v97, v85, v68
	;;#ASMEND
	;; [unrolled: 3-line block ×12, first 2 shown]
	ds_load_b128 v[76:79], v37 offset:12336
	ds_load_b128 v[80:83], v38 offset:176
	;; [unrolled: 1-line block ×6, first 2 shown]
	s_waitcnt lgkmcnt(4)
	;;#ASMSTART
	v_dot2_f32_f16 v63, v76, v80, v63
	;;#ASMEND
	;;#ASMSTART
	v_dot2_f32_f16 v63, v77, v81, v63
	;;#ASMEND
	;;#ASMSTART
	v_dot2_f32_f16 v63, v78, v82, v63
	;;#ASMEND
	;;#ASMSTART
	v_dot2_f32_f16 v63, v79, v83, v63
	;;#ASMEND
	s_waitcnt lgkmcnt(3)
	;;#ASMSTART
	v_dot2_f32_f16 v64, v76, v84, v64
	;;#ASMEND
	;;#ASMSTART
	v_dot2_f32_f16 v64, v77, v85, v64
	;;#ASMEND
	;;#ASMSTART
	v_dot2_f32_f16 v64, v78, v86, v64
	;;#ASMEND
	;;#ASMSTART
	v_dot2_f32_f16 v64, v79, v87, v64
	;;#ASMEND
	;; [unrolled: 13-line block ×5, first 2 shown]
	;;#ASMSTART
	v_dot2_f32_f16 v68, v96, v84, v68
	;;#ASMEND
	;;#ASMSTART
	v_dot2_f32_f16 v68, v97, v85, v68
	;;#ASMEND
	;; [unrolled: 3-line block ×12, first 2 shown]
	ds_load_b128 v[76:79], v37 offset:12352
	ds_load_b128 v[80:83], v38 offset:192
	;; [unrolled: 1-line block ×6, first 2 shown]
	s_waitcnt lgkmcnt(4)
	;;#ASMSTART
	v_dot2_f32_f16 v63, v76, v80, v63
	;;#ASMEND
	;;#ASMSTART
	v_dot2_f32_f16 v63, v77, v81, v63
	;;#ASMEND
	;;#ASMSTART
	v_dot2_f32_f16 v63, v78, v82, v63
	;;#ASMEND
	;;#ASMSTART
	v_dot2_f32_f16 v63, v79, v83, v63
	;;#ASMEND
	s_waitcnt lgkmcnt(3)
	;;#ASMSTART
	v_dot2_f32_f16 v64, v76, v84, v64
	;;#ASMEND
	;;#ASMSTART
	v_dot2_f32_f16 v64, v77, v85, v64
	;;#ASMEND
	;;#ASMSTART
	v_dot2_f32_f16 v64, v78, v86, v64
	;;#ASMEND
	;;#ASMSTART
	v_dot2_f32_f16 v64, v79, v87, v64
	;;#ASMEND
	;; [unrolled: 13-line block ×5, first 2 shown]
	;;#ASMSTART
	v_dot2_f32_f16 v68, v96, v84, v68
	;;#ASMEND
	;;#ASMSTART
	v_dot2_f32_f16 v68, v97, v85, v68
	;;#ASMEND
	;; [unrolled: 3-line block ×12, first 2 shown]
	ds_load_b128 v[76:79], v37 offset:12368
	ds_load_b128 v[80:83], v38 offset:208
	;; [unrolled: 1-line block ×6, first 2 shown]
	s_waitcnt lgkmcnt(4)
	;;#ASMSTART
	v_dot2_f32_f16 v63, v76, v80, v63
	;;#ASMEND
	;;#ASMSTART
	v_dot2_f32_f16 v63, v77, v81, v63
	;;#ASMEND
	;;#ASMSTART
	v_dot2_f32_f16 v63, v78, v82, v63
	;;#ASMEND
	;;#ASMSTART
	v_dot2_f32_f16 v63, v79, v83, v63
	;;#ASMEND
	s_waitcnt lgkmcnt(3)
	;;#ASMSTART
	v_dot2_f32_f16 v64, v76, v84, v64
	;;#ASMEND
	;;#ASMSTART
	v_dot2_f32_f16 v64, v77, v85, v64
	;;#ASMEND
	;;#ASMSTART
	v_dot2_f32_f16 v64, v78, v86, v64
	;;#ASMEND
	;;#ASMSTART
	v_dot2_f32_f16 v64, v79, v87, v64
	;;#ASMEND
	;; [unrolled: 13-line block ×5, first 2 shown]
	;;#ASMSTART
	v_dot2_f32_f16 v68, v96, v84, v68
	;;#ASMEND
	;;#ASMSTART
	v_dot2_f32_f16 v68, v97, v85, v68
	;;#ASMEND
	;;#ASMSTART
	v_dot2_f32_f16 v68, v98, v86, v68
	;;#ASMEND
	;;#ASMSTART
	v_dot2_f32_f16 v68, v99, v87, v68
	;;#ASMEND
	;;#ASMSTART
	v_dot2_f32_f16 v69, v96, v88, v69
	;;#ASMEND
	;;#ASMSTART
	v_dot2_f32_f16 v69, v97, v89, v69
	;;#ASMEND
	;;#ASMSTART
	v_dot2_f32_f16 v69, v98, v90, v69
	;;#ASMEND
	;;#ASMSTART
	v_dot2_f32_f16 v69, v99, v91, v69
	;;#ASMEND
	;;#ASMSTART
	v_dot2_f32_f16 v70, v96, v92, v70
	;;#ASMEND
	;;#ASMSTART
	v_dot2_f32_f16 v70, v97, v93, v70
	;;#ASMEND
	;;#ASMSTART
	v_dot2_f32_f16 v70, v98, v94, v70
	;;#ASMEND
	;;#ASMSTART
	v_dot2_f32_f16 v70, v99, v95, v70
	;;#ASMEND
	ds_load_b128 v[76:79], v37 offset:12384
	ds_load_b128 v[80:83], v38 offset:224
	;; [unrolled: 1-line block ×6, first 2 shown]
	s_waitcnt lgkmcnt(4)
	;;#ASMSTART
	v_dot2_f32_f16 v63, v76, v80, v63
	;;#ASMEND
	;;#ASMSTART
	v_dot2_f32_f16 v63, v77, v81, v63
	;;#ASMEND
	;;#ASMSTART
	v_dot2_f32_f16 v63, v78, v82, v63
	;;#ASMEND
	;;#ASMSTART
	v_dot2_f32_f16 v63, v79, v83, v63
	;;#ASMEND
	s_waitcnt lgkmcnt(3)
	;;#ASMSTART
	v_dot2_f32_f16 v64, v76, v84, v64
	;;#ASMEND
	;;#ASMSTART
	v_dot2_f32_f16 v64, v77, v85, v64
	;;#ASMEND
	;;#ASMSTART
	v_dot2_f32_f16 v64, v78, v86, v64
	;;#ASMEND
	;;#ASMSTART
	v_dot2_f32_f16 v64, v79, v87, v64
	;;#ASMEND
	;; [unrolled: 13-line block ×5, first 2 shown]
	;;#ASMSTART
	v_dot2_f32_f16 v68, v96, v84, v68
	;;#ASMEND
	;;#ASMSTART
	v_dot2_f32_f16 v68, v97, v85, v68
	;;#ASMEND
	;; [unrolled: 3-line block ×12, first 2 shown]
	ds_load_b128 v[76:79], v37 offset:12400
	ds_load_b128 v[80:83], v38 offset:240
	;; [unrolled: 1-line block ×6, first 2 shown]
	s_waitcnt lgkmcnt(4)
	;;#ASMSTART
	v_dot2_f32_f16 v63, v76, v80, v63
	;;#ASMEND
	;;#ASMSTART
	v_dot2_f32_f16 v63, v77, v81, v63
	;;#ASMEND
	;;#ASMSTART
	v_dot2_f32_f16 v63, v78, v82, v63
	;;#ASMEND
	;;#ASMSTART
	v_dot2_f32_f16 v63, v79, v83, v63
	;;#ASMEND
	s_waitcnt lgkmcnt(3)
	;;#ASMSTART
	v_dot2_f32_f16 v64, v76, v84, v64
	;;#ASMEND
	;;#ASMSTART
	v_dot2_f32_f16 v64, v77, v85, v64
	;;#ASMEND
	;;#ASMSTART
	v_dot2_f32_f16 v64, v78, v86, v64
	;;#ASMEND
	;;#ASMSTART
	v_dot2_f32_f16 v64, v79, v87, v64
	;;#ASMEND
	;; [unrolled: 13-line block ×5, first 2 shown]
	;;#ASMSTART
	v_dot2_f32_f16 v68, v96, v84, v68
	;;#ASMEND
	;;#ASMSTART
	v_dot2_f32_f16 v68, v97, v85, v68
	;;#ASMEND
	;; [unrolled: 3-line block ×12, first 2 shown]
	s_barrier
	buffer_gl0_inv
	s_clause 0x1
	global_load_b128 v[76:79], v[24:25], off offset:256
	global_load_b128 v[22:25], v[22:23], off offset:256
	s_waitcnt vmcnt(1)
	ds_store_b128 v35, v[76:79]
	s_waitcnt vmcnt(0)
	ds_store_b128 v36, v[22:25]
	s_waitcnt lgkmcnt(0)
	s_barrier
	buffer_gl0_inv
	ds_load_b128 v[22:25], v37 offset:12288
	ds_load_b128 v[76:79], v38 offset:256
	ds_load_b128 v[80:83], v38 offset:640
	ds_load_b128 v[84:87], v38 offset:1024
	ds_load_b128 v[88:91], v38 offset:1408
	ds_load_b128 v[92:95], v37 offset:16896
	s_waitcnt lgkmcnt(4)
	;;#ASMSTART
	v_dot2_f32_f16 v63, v22, v76, v63
	;;#ASMEND
	;;#ASMSTART
	v_dot2_f32_f16 v63, v23, v77, v63
	;;#ASMEND
	;;#ASMSTART
	v_dot2_f32_f16 v63, v24, v78, v63
	;;#ASMEND
	;;#ASMSTART
	v_dot2_f32_f16 v63, v25, v79, v63
	;;#ASMEND
	s_waitcnt lgkmcnt(3)
	;;#ASMSTART
	v_dot2_f32_f16 v64, v22, v80, v64
	;;#ASMEND
	;;#ASMSTART
	v_dot2_f32_f16 v64, v23, v81, v64
	;;#ASMEND
	;;#ASMSTART
	v_dot2_f32_f16 v64, v24, v82, v64
	;;#ASMEND
	;;#ASMSTART
	v_dot2_f32_f16 v64, v25, v83, v64
	;;#ASMEND
	;; [unrolled: 13-line block ×5, first 2 shown]
	;;#ASMSTART
	v_dot2_f32_f16 v68, v92, v80, v68
	;;#ASMEND
	;;#ASMSTART
	v_dot2_f32_f16 v68, v93, v81, v68
	;;#ASMEND
	;; [unrolled: 3-line block ×12, first 2 shown]
	ds_load_b128 v[22:25], v37 offset:12304
	ds_load_b128 v[76:79], v38 offset:272
	;; [unrolled: 1-line block ×6, first 2 shown]
	s_waitcnt lgkmcnt(4)
	;;#ASMSTART
	v_dot2_f32_f16 v63, v22, v76, v63
	;;#ASMEND
	;;#ASMSTART
	v_dot2_f32_f16 v63, v23, v77, v63
	;;#ASMEND
	;;#ASMSTART
	v_dot2_f32_f16 v63, v24, v78, v63
	;;#ASMEND
	;;#ASMSTART
	v_dot2_f32_f16 v63, v25, v79, v63
	;;#ASMEND
	s_waitcnt lgkmcnt(3)
	;;#ASMSTART
	v_dot2_f32_f16 v64, v22, v80, v64
	;;#ASMEND
	;;#ASMSTART
	v_dot2_f32_f16 v64, v23, v81, v64
	;;#ASMEND
	;;#ASMSTART
	v_dot2_f32_f16 v64, v24, v82, v64
	;;#ASMEND
	;;#ASMSTART
	v_dot2_f32_f16 v64, v25, v83, v64
	;;#ASMEND
	;; [unrolled: 13-line block ×5, first 2 shown]
	;;#ASMSTART
	v_dot2_f32_f16 v68, v92, v80, v68
	;;#ASMEND
	;;#ASMSTART
	v_dot2_f32_f16 v68, v93, v81, v68
	;;#ASMEND
	;; [unrolled: 3-line block ×12, first 2 shown]
	ds_load_b128 v[22:25], v37 offset:12320
	ds_load_b128 v[76:79], v38 offset:288
	;; [unrolled: 1-line block ×6, first 2 shown]
	s_waitcnt lgkmcnt(4)
	;;#ASMSTART
	v_dot2_f32_f16 v63, v22, v76, v63
	;;#ASMEND
	;;#ASMSTART
	v_dot2_f32_f16 v63, v23, v77, v63
	;;#ASMEND
	;;#ASMSTART
	v_dot2_f32_f16 v63, v24, v78, v63
	;;#ASMEND
	;;#ASMSTART
	v_dot2_f32_f16 v63, v25, v79, v63
	;;#ASMEND
	s_waitcnt lgkmcnt(3)
	;;#ASMSTART
	v_dot2_f32_f16 v64, v22, v80, v64
	;;#ASMEND
	;;#ASMSTART
	v_dot2_f32_f16 v64, v23, v81, v64
	;;#ASMEND
	;;#ASMSTART
	v_dot2_f32_f16 v64, v24, v82, v64
	;;#ASMEND
	;;#ASMSTART
	v_dot2_f32_f16 v64, v25, v83, v64
	;;#ASMEND
	;; [unrolled: 13-line block ×5, first 2 shown]
	;;#ASMSTART
	v_dot2_f32_f16 v68, v92, v80, v68
	;;#ASMEND
	;;#ASMSTART
	v_dot2_f32_f16 v68, v93, v81, v68
	;;#ASMEND
	;;#ASMSTART
	v_dot2_f32_f16 v68, v94, v82, v68
	;;#ASMEND
	;;#ASMSTART
	v_dot2_f32_f16 v68, v95, v83, v68
	;;#ASMEND
	;;#ASMSTART
	v_dot2_f32_f16 v69, v92, v84, v69
	;;#ASMEND
	;;#ASMSTART
	v_dot2_f32_f16 v69, v93, v85, v69
	;;#ASMEND
	;;#ASMSTART
	v_dot2_f32_f16 v69, v94, v86, v69
	;;#ASMEND
	;;#ASMSTART
	v_dot2_f32_f16 v69, v95, v87, v69
	;;#ASMEND
	;;#ASMSTART
	v_dot2_f32_f16 v70, v92, v88, v70
	;;#ASMEND
	;;#ASMSTART
	v_dot2_f32_f16 v70, v93, v89, v70
	;;#ASMEND
	;;#ASMSTART
	v_dot2_f32_f16 v70, v94, v90, v70
	;;#ASMEND
	;;#ASMSTART
	v_dot2_f32_f16 v70, v95, v91, v70
	;;#ASMEND
	ds_load_b128 v[22:25], v37 offset:12336
	ds_load_b128 v[76:79], v38 offset:304
	;; [unrolled: 1-line block ×6, first 2 shown]
	s_waitcnt lgkmcnt(4)
	;;#ASMSTART
	v_dot2_f32_f16 v63, v22, v76, v63
	;;#ASMEND
	;;#ASMSTART
	v_dot2_f32_f16 v63, v23, v77, v63
	;;#ASMEND
	;;#ASMSTART
	v_dot2_f32_f16 v63, v24, v78, v63
	;;#ASMEND
	;;#ASMSTART
	v_dot2_f32_f16 v63, v25, v79, v63
	;;#ASMEND
	s_waitcnt lgkmcnt(3)
	;;#ASMSTART
	v_dot2_f32_f16 v64, v22, v80, v64
	;;#ASMEND
	;;#ASMSTART
	v_dot2_f32_f16 v64, v23, v81, v64
	;;#ASMEND
	;;#ASMSTART
	v_dot2_f32_f16 v64, v24, v82, v64
	;;#ASMEND
	;;#ASMSTART
	v_dot2_f32_f16 v64, v25, v83, v64
	;;#ASMEND
	;; [unrolled: 13-line block ×5, first 2 shown]
	;;#ASMSTART
	v_dot2_f32_f16 v68, v92, v80, v68
	;;#ASMEND
	;;#ASMSTART
	v_dot2_f32_f16 v68, v93, v81, v68
	;;#ASMEND
	;; [unrolled: 3-line block ×12, first 2 shown]
	ds_load_b128 v[22:25], v37 offset:12352
	ds_load_b128 v[76:79], v38 offset:320
	;; [unrolled: 1-line block ×6, first 2 shown]
	s_waitcnt lgkmcnt(4)
	;;#ASMSTART
	v_dot2_f32_f16 v63, v22, v76, v63
	;;#ASMEND
	;;#ASMSTART
	v_dot2_f32_f16 v63, v23, v77, v63
	;;#ASMEND
	;;#ASMSTART
	v_dot2_f32_f16 v63, v24, v78, v63
	;;#ASMEND
	;;#ASMSTART
	v_dot2_f32_f16 v63, v25, v79, v63
	;;#ASMEND
	s_waitcnt lgkmcnt(3)
	;;#ASMSTART
	v_dot2_f32_f16 v64, v22, v80, v64
	;;#ASMEND
	;;#ASMSTART
	v_dot2_f32_f16 v64, v23, v81, v64
	;;#ASMEND
	;;#ASMSTART
	v_dot2_f32_f16 v64, v24, v82, v64
	;;#ASMEND
	;;#ASMSTART
	v_dot2_f32_f16 v64, v25, v83, v64
	;;#ASMEND
	s_waitcnt lgkmcnt(2)
	;;#ASMSTART
	v_dot2_f32_f16 v65, v22, v84, v65
	;;#ASMEND
	;;#ASMSTART
	v_dot2_f32_f16 v65, v23, v85, v65
	;;#ASMEND
	;;#ASMSTART
	v_dot2_f32_f16 v65, v24, v86, v65
	;;#ASMEND
	;;#ASMSTART
	v_dot2_f32_f16 v65, v25, v87, v65
	;;#ASMEND
	s_waitcnt lgkmcnt(1)
	;;#ASMSTART
	v_dot2_f32_f16 v66, v22, v88, v66
	;;#ASMEND
	;;#ASMSTART
	v_dot2_f32_f16 v66, v23, v89, v66
	;;#ASMEND
	;;#ASMSTART
	v_dot2_f32_f16 v66, v24, v90, v66
	;;#ASMEND
	;;#ASMSTART
	v_dot2_f32_f16 v66, v25, v91, v66
	;;#ASMEND
	s_waitcnt lgkmcnt(0)
	;;#ASMSTART
	v_dot2_f32_f16 v67, v92, v76, v67
	;;#ASMEND
	;;#ASMSTART
	v_dot2_f32_f16 v67, v93, v77, v67
	;;#ASMEND
	;;#ASMSTART
	v_dot2_f32_f16 v67, v94, v78, v67
	;;#ASMEND
	;;#ASMSTART
	v_dot2_f32_f16 v67, v95, v79, v67
	;;#ASMEND
	;;#ASMSTART
	v_dot2_f32_f16 v68, v92, v80, v68
	;;#ASMEND
	;;#ASMSTART
	v_dot2_f32_f16 v68, v93, v81, v68
	;;#ASMEND
	;; [unrolled: 3-line block ×12, first 2 shown]
	ds_load_b128 v[22:25], v37 offset:12368
	ds_load_b128 v[76:79], v38 offset:336
	;; [unrolled: 1-line block ×6, first 2 shown]
	s_waitcnt lgkmcnt(4)
	;;#ASMSTART
	v_dot2_f32_f16 v63, v22, v76, v63
	;;#ASMEND
	;;#ASMSTART
	v_dot2_f32_f16 v63, v23, v77, v63
	;;#ASMEND
	;;#ASMSTART
	v_dot2_f32_f16 v63, v24, v78, v63
	;;#ASMEND
	;;#ASMSTART
	v_dot2_f32_f16 v63, v25, v79, v63
	;;#ASMEND
	s_waitcnt lgkmcnt(3)
	;;#ASMSTART
	v_dot2_f32_f16 v64, v22, v80, v64
	;;#ASMEND
	;;#ASMSTART
	v_dot2_f32_f16 v64, v23, v81, v64
	;;#ASMEND
	;;#ASMSTART
	v_dot2_f32_f16 v64, v24, v82, v64
	;;#ASMEND
	;;#ASMSTART
	v_dot2_f32_f16 v64, v25, v83, v64
	;;#ASMEND
	;; [unrolled: 13-line block ×5, first 2 shown]
	;;#ASMSTART
	v_dot2_f32_f16 v68, v92, v80, v68
	;;#ASMEND
	;;#ASMSTART
	v_dot2_f32_f16 v68, v93, v81, v68
	;;#ASMEND
	;; [unrolled: 3-line block ×12, first 2 shown]
	ds_load_b128 v[22:25], v37 offset:12384
	ds_load_b128 v[76:79], v38 offset:352
	;; [unrolled: 1-line block ×6, first 2 shown]
	s_waitcnt lgkmcnt(4)
	;;#ASMSTART
	v_dot2_f32_f16 v63, v22, v76, v63
	;;#ASMEND
	;;#ASMSTART
	v_dot2_f32_f16 v63, v23, v77, v63
	;;#ASMEND
	;;#ASMSTART
	v_dot2_f32_f16 v63, v24, v78, v63
	;;#ASMEND
	;;#ASMSTART
	v_dot2_f32_f16 v63, v25, v79, v63
	;;#ASMEND
	s_waitcnt lgkmcnt(3)
	;;#ASMSTART
	v_dot2_f32_f16 v64, v22, v80, v64
	;;#ASMEND
	;;#ASMSTART
	v_dot2_f32_f16 v64, v23, v81, v64
	;;#ASMEND
	;;#ASMSTART
	v_dot2_f32_f16 v64, v24, v82, v64
	;;#ASMEND
	;;#ASMSTART
	v_dot2_f32_f16 v64, v25, v83, v64
	;;#ASMEND
	;; [unrolled: 13-line block ×5, first 2 shown]
	;;#ASMSTART
	v_dot2_f32_f16 v68, v92, v80, v68
	;;#ASMEND
	;;#ASMSTART
	v_dot2_f32_f16 v68, v93, v81, v68
	;;#ASMEND
	;; [unrolled: 3-line block ×12, first 2 shown]
	ds_load_b128 v[22:25], v37 offset:12400
	ds_load_b128 v[76:79], v38 offset:368
	;; [unrolled: 1-line block ×6, first 2 shown]
	s_waitcnt lgkmcnt(4)
	;;#ASMSTART
	v_dot2_f32_f16 v63, v22, v76, v63
	;;#ASMEND
	;;#ASMSTART
	v_dot2_f32_f16 v63, v23, v77, v63
	;;#ASMEND
	;;#ASMSTART
	v_dot2_f32_f16 v63, v24, v78, v63
	;;#ASMEND
	;;#ASMSTART
	v_dot2_f32_f16 v63, v25, v79, v63
	;;#ASMEND
	s_waitcnt lgkmcnt(3)
	;;#ASMSTART
	v_dot2_f32_f16 v64, v22, v80, v64
	;;#ASMEND
	;;#ASMSTART
	v_dot2_f32_f16 v64, v23, v81, v64
	;;#ASMEND
	;;#ASMSTART
	v_dot2_f32_f16 v64, v24, v82, v64
	;;#ASMEND
	;;#ASMSTART
	v_dot2_f32_f16 v64, v25, v83, v64
	;;#ASMEND
	;; [unrolled: 13-line block ×5, first 2 shown]
	;;#ASMSTART
	v_dot2_f32_f16 v68, v92, v80, v68
	;;#ASMEND
	;;#ASMSTART
	v_dot2_f32_f16 v68, v93, v81, v68
	;;#ASMEND
	;; [unrolled: 3-line block ×12, first 2 shown]
	s_clause 0x1
	flat_load_u16 v80, v[20:21]
	flat_load_u16 v20, v[20:21] offset:64
	s_waitcnt vmcnt(0) lgkmcnt(0)
	s_barrier
	buffer_gl0_inv
	s_clause 0x1
	global_load_b128 v[22:25], v[2:3], off
	global_load_b128 v[76:79], v[0:1], off
	v_cvt_f32_f16_e32 v0, v80
	v_cvt_f32_f16_e32 v1, v20
	s_delay_alu instid0(VALU_DEP_2) | instskip(SKIP_1) | instid1(VALU_DEP_3)
	v_add_f32_e32 v20, v64, v0
	v_add_f32_e32 v21, v63, v0
	;; [unrolled: 1-line block ×3, first 2 shown]
	v_dual_add_f32 v63, v68, v1 :: v_dual_add_f32 v66, v66, v0
	v_add_f32_e32 v65, v65, v0
	s_delay_alu instid0(VALU_DEP_3) | instskip(SKIP_1) | instid1(VALU_DEP_4)
	v_dual_add_f32 v67, v70, v1 :: v_dual_add_f32 v2, 0x40051340, v64
	v_dual_add_f32 v68, v69, v1 :: v_dual_add_f32 v1, 0x40051340, v20
	;; [unrolled: 1-line block ×3, first 2 shown]
	s_delay_alu instid0(VALU_DEP_4) | instskip(NEXT) | instid1(VALU_DEP_3)
	v_dual_add_f32 v69, 0x40051340, v65 :: v_dual_add_f32 v70, 0x40051340, v66
	v_add_f32_e32 v81, 0x40051340, v68
	s_delay_alu instid0(VALU_DEP_3) | instskip(NEXT) | instid1(VALU_DEP_4)
	v_max3_f32 v0, v62, v0, v2
	v_max3_f32 v1, v61, v1, v3
	s_delay_alu instid0(VALU_DEP_3) | instskip(SKIP_3) | instid1(VALU_DEP_1)
	v_max3_f32 v3, v60, v69, v81
	ds_bpermute_b32 v69, v75, v0
	s_waitcnt lgkmcnt(0)
	v_dual_add_f32 v80, 0x40051340, v67 :: v_dual_max_f32 v69, v69, v69
	v_max3_f32 v2, v59, v70, v80
	ds_bpermute_b32 v70, v75, v1
	ds_bpermute_b32 v80, v75, v2
	;; [unrolled: 1-line block ×3, first 2 shown]
	s_waitcnt lgkmcnt(0)
	v_dual_max_f32 v70, v70, v70 :: v_dual_max_f32 v75, v75, v75
	v_max_f32_e32 v0, v0, v69
	s_delay_alu instid0(VALU_DEP_2) | instskip(NEXT) | instid1(VALU_DEP_3)
	v_dual_max_f32 v80, v80, v80 :: v_dual_max_f32 v1, v1, v70
	v_max_f32_e32 v3, v3, v75
	ds_bpermute_b32 v69, v74, v0
	v_max_f32_e32 v2, v2, v80
	ds_bpermute_b32 v70, v74, v1
	s_waitcnt lgkmcnt(1)
	v_max_f32_e32 v69, v69, v69
	ds_bpermute_b32 v75, v74, v2
	ds_bpermute_b32 v74, v74, v3
	s_waitcnt lgkmcnt(1)
	v_dual_max_f32 v70, v70, v70 :: v_dual_max_f32 v75, v75, v75
	s_delay_alu instid0(VALU_DEP_1)
	v_dual_max_f32 v0, v0, v69 :: v_dual_max_f32 v1, v1, v70
	ds_bpermute_b32 v69, v73, v0
	s_waitcnt lgkmcnt(1)
	v_max_f32_e32 v74, v74, v74
	ds_bpermute_b32 v70, v73, v1
	s_waitcnt lgkmcnt(1)
	v_dual_max_f32 v69, v69, v69 :: v_dual_max_f32 v2, v2, v75
	v_max_f32_e32 v3, v3, v74
	ds_bpermute_b32 v74, v73, v2
	ds_bpermute_b32 v73, v73, v3
	s_waitcnt lgkmcnt(0)
	v_dual_max_f32 v70, v70, v70 :: v_dual_max_f32 v73, v73, v73
	s_delay_alu instid0(VALU_DEP_1) | instskip(NEXT) | instid1(VALU_DEP_2)
	v_dual_max_f32 v0, v0, v69 :: v_dual_max_f32 v1, v1, v70
	v_dual_max_f32 v74, v74, v74 :: v_dual_max_f32 v3, v3, v73
	ds_bpermute_b32 v69, v72, v0
	ds_bpermute_b32 v70, v72, v1
	s_waitcnt lgkmcnt(1)
	v_dual_max_f32 v2, v2, v74 :: v_dual_max_f32 v69, v69, v69
	ds_bpermute_b32 v73, v72, v2
	ds_bpermute_b32 v72, v72, v3
	s_waitcnt lgkmcnt(1)
	v_dual_max_f32 v70, v70, v70 :: v_dual_max_f32 v73, v73, v73
	s_waitcnt lgkmcnt(0)
	s_delay_alu instid0(VALU_DEP_1) | instskip(NEXT) | instid1(VALU_DEP_1)
	v_dual_max_f32 v72, v72, v72 :: v_dual_max_f32 v1, v1, v70
	v_dual_max_f32 v0, v0, v69 :: v_dual_max_f32 v69, v3, v72
	ds_bpermute_b32 v70, v71, v1
	ds_bpermute_b32 v3, v71, v0
	s_waitcnt lgkmcnt(0)
	v_dual_max_f32 v2, v2, v73 :: v_dual_max_f32 v3, v3, v3
	ds_bpermute_b32 v72, v71, v2
	ds_bpermute_b32 v71, v71, v69
	s_waitcnt lgkmcnt(0)
	v_dual_max_f32 v70, v70, v70 :: v_dual_max_f32 v71, v71, v71
	s_delay_alu instid0(VALU_DEP_1) | instskip(NEXT) | instid1(VALU_DEP_1)
	v_dual_max_f32 v72, v72, v72 :: v_dual_max_f32 v1, v1, v70
	v_dual_max_f32 v0, v0, v3 :: v_dual_max_f32 v3, v2, v72
	s_delay_alu instid0(VALU_DEP_2) | instskip(NEXT) | instid1(VALU_DEP_2)
	v_dual_max_f32 v2, v69, v71 :: v_dual_sub_f32 v63, v63, v1
	v_dual_sub_f32 v62, v62, v0 :: v_dual_sub_f32 v61, v61, v1
	v_dual_sub_f32 v21, v21, v0 :: v_dual_sub_f32 v20, v20, v1
	s_delay_alu instid0(VALU_DEP_3) | instskip(SKIP_2) | instid1(VALU_DEP_4)
	v_dual_sub_f32 v68, v68, v2 :: v_dual_sub_f32 v67, v67, v3
	v_dual_sub_f32 v64, v64, v0 :: v_dual_sub_f32 v65, v65, v2
	v_sub_f32_e32 v66, v66, v3
	v_dual_mul_f32 v70, 0x3fb8aa3b, v20 :: v_dual_mul_f32 v71, 0x3fb8aa3b, v21
	v_dual_mul_f32 v72, 0x3fb8aa3b, v62 :: v_dual_mul_f32 v73, 0x3fb8aa3b, v63
	;; [unrolled: 1-line block ×3, first 2 shown]
	s_delay_alu instid0(VALU_DEP_4)
	v_dual_mul_f32 v69, 0x3fb8aa3b, v64 :: v_dual_mul_f32 v80, 0x3fb8aa3b, v66
	v_mul_f32_e32 v81, 0x3fb8aa3b, v65
	v_fma_f32 v87, 0x3fb8aa3b, v20, -v70
	v_fma_f32 v91, 0x3fb8aa3b, v62, -v72
	v_rndne_f32_e32 v92, v72
	v_fma_f32 v97, 0x3fb8aa3b, v68, -v75
	v_rndne_f32_e32 v98, v75
	v_cmp_ngt_f32_e64 s3, 0xc2ce8ed0, v62
	v_cmp_ngt_f32_e64 s6, 0xc2ce8ed0, v68
	v_cmp_nlt_f32_e64 s16, 0x42b17218, v62
	v_cmp_nlt_f32_e64 s19, 0x42b17218, v68
	v_fma_f32 v99, 0x3fb8aa3b, v66, -v80
	v_fmac_f32_e32 v87, 0x32a5705f, v20
	v_dual_fmac_f32 v91, 0x32a5705f, v62 :: v_dual_sub_f32 v62, v72, v92
	v_dual_fmac_f32 v97, 0x32a5705f, v68 :: v_dual_sub_f32 v68, v75, v98
	v_cvt_i32_f32_e32 v75, v98
	v_dual_sub_f32 v60, v60, v2 :: v_dual_sub_f32 v59, v59, v3
	s_delay_alu instid0(VALU_DEP_4) | instskip(NEXT) | instid1(VALU_DEP_4)
	v_dual_add_f32 v62, v62, v91 :: v_dual_fmac_f32 v99, 0x32a5705f, v66
	v_add_f32_e32 v68, v68, v97
	v_fma_f32 v85, 0x3fb8aa3b, v64, -v69
	v_rndne_f32_e32 v86, v69
	v_rndne_f32_e32 v88, v70
	v_fma_f32 v89, 0x3fb8aa3b, v21, -v71
	v_exp_f32_e32 v68, v68
	v_rndne_f32_e32 v90, v71
	v_mul_f32_e32 v84, 0x3fb8aa3b, v59
	v_cmp_ngt_f32_e32 vcc_lo, 0xc2ce8ed0, v20
	v_cmp_ngt_f32_e64 s2, 0xc2ce8ed0, v21
	v_cmp_ngt_f32_e64 s12, 0xc2ce8ed0, v64
	v_cmp_nlt_f32_e64 s13, 0x42b17218, v20
	v_cmp_nlt_f32_e64 s15, 0x42b17218, v21
	;; [unrolled: 1-line block ×3, first 2 shown]
	v_fma_f32 v95, 0x3fb8aa3b, v61, -v74
	v_ldexp_f32 v68, v68, v75
	v_rndne_f32_e32 v96, v74
	v_dual_fmac_f32 v85, 0x32a5705f, v64 :: v_dual_sub_f32 v64, v69, v86
	v_dual_sub_f32 v20, v70, v88 :: v_dual_fmac_f32 v89, 0x32a5705f, v21
	v_sub_f32_e32 v21, v71, v90
	v_cndmask_b32_e64 v68, 0, v68, s6
	v_cmp_ngt_f32_e64 s5, 0xc2ce8ed0, v61
	v_cmp_nlt_f32_e64 s18, 0x42b17218, v61
	v_dual_fmac_f32 v95, 0x32a5705f, v61 :: v_dual_add_f32 v20, v20, v87
	v_dual_sub_f32 v61, v74, v96 :: v_dual_add_f32 v64, v64, v85
	v_cndmask_b32_e64 v127, 0x7f800000, v68, s19
	v_add_f32_e32 v21, v21, v89
	v_cvt_i32_f32_e32 v69, v86
	v_cvt_i32_f32_e32 v71, v90
	v_exp_f32_e32 v64, v64
	v_exp_f32_e32 v20, v20
	;; [unrolled: 1-line block ×4, first 2 shown]
	v_dual_mul_f32 v82, 0x3fb8aa3b, v60 :: v_dual_mul_f32 v83, 0x3fb8aa3b, v67
	v_cvt_i32_f32_e32 v70, v88
	v_cvt_i32_f32_e32 v72, v92
	v_fma_f32 v93, 0x3fb8aa3b, v63, -v73
	v_rndne_f32_e32 v94, v73
	v_ldexp_f32 v64, v64, v69
	v_fma_f32 v105, 0x3fb8aa3b, v67, -v83
	s_delay_alu instid0(TRANS32_DEP_2)
	v_ldexp_f32 v21, v21, v71
	v_ldexp_f32 v20, v20, v70
	;; [unrolled: 1-line block ×3, first 2 shown]
	v_cndmask_b32_e64 v64, 0, v64, s12
	v_fma_f32 v103, 0x3fb8aa3b, v60, -v82
	v_cndmask_b32_e64 v21, 0, v21, s2
	v_rndne_f32_e32 v104, v82
	v_rndne_f32_e32 v106, v83
	v_dual_fmac_f32 v105, 0x32a5705f, v67 :: v_dual_cndmask_b32 v20, 0, v20
	v_cndmask_b32_e64 v62, 0, v62, s3
	v_cndmask_b32_e64 v64, 0x7f800000, v64, s25
	;; [unrolled: 1-line block ×3, first 2 shown]
	v_cmp_ngt_f32_e64 s4, 0xc2ce8ed0, v63
	v_cmp_ngt_f32_e64 s9, 0xc2ce8ed0, v60
	;; [unrolled: 1-line block ×3, first 2 shown]
	v_cmp_nlt_f32_e64 s17, 0x42b17218, v63
	v_cmp_nlt_f32_e64 s22, 0x42b17218, v60
	v_cmp_nlt_f32_e64 s23, 0x42b17218, v67
	v_rndne_f32_e32 v100, v80
	v_fma_f32 v101, 0x3fb8aa3b, v65, -v81
	v_rndne_f32_e32 v102, v81
	v_fmac_f32_e32 v93, 0x32a5705f, v63
	v_sub_f32_e32 v63, v73, v94
	v_sub_f32_e32 v67, v83, v106
	v_cndmask_b32_e64 v69, 0x7f800000, v20, s13
	v_add_f32_e32 v20, v21, v64
	v_cndmask_b32_e64 v62, 0x7f800000, v62, s16
	v_fmac_f32_e32 v103, 0x32a5705f, v60
	v_sub_f32_e32 v60, v82, v104
	v_cmp_ngt_f32_e64 s7, 0xc2ce8ed0, v66
	v_cmp_ngt_f32_e64 s8, 0xc2ce8ed0, v65
	v_fmac_f32_e32 v20, v58, v62
	v_cmp_nlt_f32_e64 s20, 0x42b17218, v66
	v_cmp_nlt_f32_e64 s21, 0x42b17218, v65
	v_dual_sub_f32 v66, v80, v100 :: v_dual_fmac_f32 v101, 0x32a5705f, v65
	v_dual_sub_f32 v65, v81, v102 :: v_dual_add_f32 v60, v60, v103
	v_cvt_i32_f32_e32 v82, v104
	s_delay_alu instid0(VALU_DEP_3) | instskip(SKIP_1) | instid1(VALU_DEP_4)
	v_dual_add_f32 v66, v66, v99 :: v_dual_add_f32 v67, v67, v105
	v_cvt_i32_f32_e32 v74, v96
	v_exp_f32_e32 v60, v60
	v_cvt_i32_f32_e32 v80, v100
	s_delay_alu instid0(VALU_DEP_3)
	v_exp_f32_e32 v66, v66
	v_exp_f32_e32 v67, v67
	v_cvt_i32_f32_e32 v83, v106
	v_fma_f32 v107, 0x3fb8aa3b, v59, -v84
	v_rndne_f32_e32 v108, v84
	v_cmp_ngt_f32_e64 s11, 0xc2ce8ed0, v59
	v_cmp_nlt_f32_e64 s24, 0x42b17218, v59
	v_add_f32_e32 v63, v63, v93
	v_ldexp_f32 v60, v60, v82
	v_add_f32_e32 v65, v65, v101
	v_ldexp_f32 v66, v66, v80
	v_ldexp_f32 v67, v67, v83
	v_exp_f32_e32 v63, v63
	v_cndmask_b32_e64 v60, 0, v60, s9
	v_exp_f32_e32 v65, v65
	v_cndmask_b32_e64 v66, 0, v66, s7
	v_cndmask_b32_e64 v67, 0, v67, s10
	v_cvt_i32_f32_e32 v73, v94
	v_cndmask_b32_e64 v129, 0x7f800000, v60, s22
	v_add_f32_e32 v61, v61, v95
	v_cvt_i32_f32_e32 v81, v102
	v_cndmask_b32_e64 v60, 0x7f800000, v67, s23
	v_ldexp_f32 v63, v63, v73
	v_cvt_f16_f32_e32 v64, v64
	v_exp_f32_e32 v61, v61
	v_ldexp_f32 v65, v65, v81
	v_cvt_f16_f32_e32 v67, v127
	v_cndmask_b32_e64 v63, 0, v63, s4
	v_cvt_f16_f32_e64 v131, v62
	v_cvt_f16_f32_e64 v133, v129
	v_cndmask_b32_e64 v65, 0, v65, s8
	s_delay_alu instid0(VALU_DEP_4) | instskip(NEXT) | instid1(VALU_DEP_4)
	v_cndmask_b32_e64 v63, 0x7f800000, v63, s17
	v_pk_mul_f16 v56, v131, v56 op_sel_hi:[0,1]
	s_delay_alu instid0(TRANS32_DEP_1) | instskip(NEXT) | instid1(VALU_DEP_4)
	v_ldexp_f32 v61, v61, v74
	v_cndmask_b32_e64 v128, 0x7f800000, v65, s21
	v_cvt_f16_f32_e32 v65, v69
	v_pk_mul_f16 v135, v133, v52 op_sel_hi:[0,1]
	s_delay_alu instid0(VALU_DEP_4) | instskip(NEXT) | instid1(VALU_DEP_4)
	v_cndmask_b32_e64 v61, 0, v61, s5
	v_cvt_f16_f32_e64 v68, v128
	s_delay_alu instid0(VALU_DEP_2)
	v_cndmask_b32_e64 v126, 0x7f800000, v61, s18
	v_cndmask_b32_e64 v61, 0x7f800000, v66, s20
	v_fmac_f32_e32 v107, 0x32a5705f, v59
	v_sub_f32_e32 v59, v84, v108
	v_cvt_i32_f32_e32 v84, v108
	v_cvt_f16_f32_e32 v66, v21
	v_add_f32_e32 v134, v61, v60
	v_add_f32_e32 v21, v69, v63
	;; [unrolled: 1-line block ×3, first 2 shown]
	v_cvt_f16_f32_e32 v63, v63
	v_cvt_f16_f32_e32 v60, v60
	v_pack_b32_f16 v58, v66, v65
	v_cvt_f16_f32_e64 v132, v126
	v_exp_f32_e32 v59, v59
	v_fmac_f32_e32 v21, v57, v126
	s_delay_alu instid0(VALU_DEP_2) | instskip(SKIP_2) | instid1(VALU_DEP_1)
	v_pk_mul_f16 v54, v132, v54 op_sel_hi:[0,1]
	s_waitcnt_depctr 0xfff
	v_ldexp_f32 v59, v59, v84
	v_cndmask_b32_e64 v59, 0, v59, s11
	s_delay_alu instid0(VALU_DEP_1) | instskip(SKIP_3) | instid1(VALU_DEP_4)
	v_cndmask_b32_e64 v130, 0x7f800000, v59, s24
	v_cvt_f16_f32_e32 v59, v61
	v_pack_b32_f16 v61, v67, v60
	v_pack_b32_f16 v60, v64, v63
	v_cvt_f16_f32_e64 v69, v130
	s_delay_alu instid0(VALU_DEP_4)
	v_pack_b32_f16 v59, v68, v59
	ds_store_2addr_b64 v43, v[58:59], v[60:61] offset1:32
	s_waitcnt vmcnt(1)
	ds_store_b128 v40, v[22:25]
	s_waitcnt vmcnt(0)
	ds_store_b128 v41, v[76:79]
	v_pk_mul_f16 v136, v69, v50 op_sel_hi:[0,1]
	v_pk_mul_f16 v137, v69, v49 op_sel_hi:[0,1]
	s_waitcnt lgkmcnt(0)
	s_barrier
	buffer_gl0_inv
	ds_load_2addr_b64 v[22:25], v45 offset1:32
	ds_load_b128 v[58:61], v39
	ds_load_b128 v[62:65], v39 offset:16
	ds_load_b128 v[66:69], v39 offset:32
	;; [unrolled: 1-line block ×3, first 2 shown]
	ds_load_2addr_b64 v[74:77], v45 offset0:64 offset1:96
	ds_load_2addr_b64 v[78:81], v45 offset0:128 offset1:160
	;; [unrolled: 1-line block ×3, first 2 shown]
	ds_load_2addr_b64 v[86:89], v46 offset1:32
	ds_load_2addr_b64 v[90:93], v46 offset0:64 offset1:96
	ds_load_b128 v[94:97], v39 offset:64
	ds_load_b128 v[98:101], v39 offset:80
	ds_load_2addr_b64 v[102:105], v46 offset0:128 offset1:160
	ds_load_2addr_b64 v[106:109], v46 offset0:192 offset1:224
	ds_load_b128 v[110:113], v39 offset:96
	ds_load_b128 v[114:117], v39 offset:112
	ds_load_2addr_b64 v[118:121], v47 offset1:32
	ds_load_2addr_b64 v[122:125], v47 offset0:64 offset1:96
	s_waitcnt lgkmcnt(16)
	v_pk_mul_f16 v49, v22, v58 op_sel_hi:[1,0]
	v_pk_mul_f16 v50, v22, v59 op_sel_hi:[1,0]
	v_pk_fma_f16 v56, v23, v58, v56 op_sel_hi:[1,0,1]
	v_pk_fma_f16 v54, v23, v58, v54 op_sel:[0,1,0]
	s_delay_alu instid0(VALU_DEP_4)
	v_pk_fma_f16 v55, v131, v55, v49 op_sel_hi:[0,1,1]
	v_pk_mul_f16 v49, v22, v58 op_sel:[0,1]
	v_pk_fma_f16 v131, v133, v51, v50 op_sel_hi:[0,1,1]
	v_pk_fma_f16 v22, v22, v59, v136 op_sel:[0,1,0]
	v_pk_fma_f16 v58, v23, v59, v135 op_sel_hi:[1,0,1]
	v_pk_fma_f16 v23, v23, v59, v137 op_sel:[0,1,0]
	v_pk_fma_f16 v53, v132, v53, v49 op_sel_hi:[0,1,1]
	v_pk_fma_f16 v132, v25, v60, v56 op_sel_hi:[1,0,1]
	v_pk_fma_f16 v59, v24, v61, v22 op_sel:[0,1,0]
	v_pk_fma_f16 v133, v25, v60, v54 op_sel:[0,1,0]
	v_pk_fma_f16 v58, v25, v61, v58 op_sel_hi:[1,0,1]
	v_pk_fma_f16 v135, v25, v61, v23 op_sel:[0,1,0]
	v_pk_fma_f16 v136, v24, v60, v55 op_sel_hi:[1,0,1]
	;; [unrolled: 2-line block ×3, first 2 shown]
	s_waitcnt lgkmcnt(12)
	v_pk_fma_f16 v59, v74, v63, v59 op_sel:[0,1,0]
	v_pk_fma_f16 v131, v75, v62, v132 op_sel_hi:[1,0,1]
	v_pk_fma_f16 v132, v75, v62, v133 op_sel:[0,1,0]
	v_pk_fma_f16 v58, v75, v63, v58 op_sel_hi:[1,0,1]
	;; [unrolled: 2-line block ×3, first 2 shown]
	v_mov_b32_e32 v136, v34
	v_pk_fma_f16 v60, v74, v62, v60 op_sel:[0,1,0]
	v_pk_fma_f16 v61, v74, v63, v61 op_sel_hi:[1,0,1]
	v_pk_fma_f16 v74, v76, v65, v59 op_sel:[0,1,0]
	v_pk_fma_f16 v131, v77, v64, v131 op_sel_hi:[1,0,1]
	v_pk_fma_f16 v132, v77, v64, v132 op_sel:[0,1,0]
	v_pk_fma_f16 v135, v77, v65, v58 op_sel_hi:[1,0,1]
	v_pk_fma_f16 v75, v77, v65, v75 op_sel:[0,1,0]
	v_pk_fma_f16 v77, v76, v64, v133 op_sel_hi:[1,0,1]
	v_pk_fma_f16 v133, v76, v64, v60 op_sel:[0,1,0]
	v_pk_fma_f16 v76, v76, v65, v61 op_sel_hi:[1,0,1]
	s_waitcnt lgkmcnt(11)
	v_pk_fma_f16 v74, v78, v67, v74 op_sel:[0,1,0]
	v_pk_fma_f16 v131, v79, v66, v131 op_sel_hi:[1,0,1]
	v_pk_fma_f16 v132, v79, v66, v132 op_sel:[0,1,0]
	v_pk_fma_f16 v135, v79, v67, v135 op_sel_hi:[1,0,1]
	v_pk_fma_f16 v75, v79, v67, v75 op_sel:[0,1,0]
	v_pk_fma_f16 v77, v78, v66, v77 op_sel_hi:[1,0,1]
	v_pk_fma_f16 v66, v78, v66, v133 op_sel:[0,1,0]
	v_pk_fma_f16 v67, v78, v67, v76 op_sel_hi:[1,0,1]
	v_pk_fma_f16 v78, v80, v69, v74 op_sel:[0,1,0]
	v_pk_fma_f16 v79, v81, v68, v131 op_sel_hi:[1,0,1]
	v_pk_fma_f16 v131, v81, v68, v132 op_sel:[0,1,0]
	v_pk_fma_f16 v132, v81, v69, v135 op_sel_hi:[1,0,1]
	v_pk_fma_f16 v81, v81, v69, v75 op_sel:[0,1,0]
	v_pk_fma_f16 v133, v80, v68, v77 op_sel_hi:[1,0,1]
	v_pk_fma_f16 v135, v80, v68, v66 op_sel:[0,1,0]
	v_pk_fma_f16 v80, v80, v69, v67 op_sel_hi:[1,0,1]
	s_waitcnt lgkmcnt(10)
	v_pk_fma_f16 v78, v82, v71, v78 op_sel:[0,1,0]
	v_pk_fma_f16 v79, v83, v70, v79 op_sel_hi:[1,0,1]
	v_pk_fma_f16 v131, v83, v70, v131 op_sel:[0,1,0]
	v_pk_fma_f16 v132, v83, v71, v132 op_sel_hi:[1,0,1]
	v_pk_fma_f16 v81, v83, v71, v81 op_sel:[0,1,0]
	v_pk_fma_f16 v83, v82, v70, v133 op_sel_hi:[1,0,1]
	;; [unrolled: 17-line block ×5, first 2 shown]
	v_pk_fma_f16 v100, v102, v110, v100 op_sel:[0,1,0]
	v_pk_fma_f16 v101, v102, v111, v101 op_sel_hi:[1,0,1]
	ds_load_b128 v[49:52], v39 offset:128
	ds_load_b128 v[22:25], v39 offset:144
	ds_load_2addr_b64 v[53:56], v47 offset0:128 offset1:160
	ds_load_2addr_b64 v[58:61], v47 offset0:192 offset1:224
	ds_load_b128 v[62:65], v39 offset:160
	ds_load_b128 v[66:69], v39 offset:176
	ds_load_2addr_b64 v[74:77], v48 offset1:32
	ds_load_2addr_b64 v[70:73], v48 offset0:64 offset1:96
	ds_load_b128 v[78:81], v39 offset:192
	ds_load_b128 v[82:85], v39 offset:208
	ds_load_2addr_b64 v[86:89], v48 offset0:128 offset1:160
	ds_load_2addr_b64 v[90:93], v48 offset0:192 offset1:224
	ds_load_b128 v[94:97], v39 offset:224
	v_pk_fma_f16 v110, v104, v113, v98 op_sel:[0,1,0]
	v_pk_fma_f16 v111, v105, v112, v99 op_sel_hi:[1,0,1]
	v_pk_fma_f16 v131, v105, v112, v131 op_sel:[0,1,0]
	v_pk_fma_f16 v132, v105, v113, v132 op_sel_hi:[1,0,1]
	;; [unrolled: 2-line block ×4, first 2 shown]
	ds_load_b128 v[98:101], v39 offset:240
	s_waitcnt lgkmcnt(0)
	s_barrier
	buffer_gl0_inv
	s_clause 0x1
	global_load_b128 v[102:105], v[18:19], off
	global_load_b128 v[16:19], v[16:17], off
	v_add_f32_e32 v34, v128, v127
	v_pk_fma_f16 v57, v106, v115, v110 op_sel:[0,1,0]
	v_pk_fma_f16 v110, v107, v114, v111 op_sel_hi:[1,0,1]
	v_pk_fma_f16 v111, v107, v114, v131 op_sel:[0,1,0]
	v_pk_fma_f16 v126, v107, v115, v132 op_sel_hi:[1,0,1]
	;; [unrolled: 2-line block ×64, first 2 shown]
	v_mov_b32_e32 v137, v33
	v_mov_b32_e32 v33, v134
	v_pk_fma_f16 v24, v90, v99, v24 op_sel:[0,1,0]
	v_pk_fma_f16 v25, v91, v98, v25 op_sel_hi:[1,0,1]
	v_pk_fma_f16 v49, v91, v98, v49 op_sel:[0,1,0]
	v_pk_fma_f16 v50, v91, v99, v50 op_sel_hi:[1,0,1]
	;; [unrolled: 2-line block ×4, first 2 shown]
	v_dual_fmac_f32 v34, v136, v129 :: v_dual_fmac_f32 v33, v137, v130
	v_pk_fma_f16 v125, v92, v101, v24 op_sel:[0,1,0]
	v_pk_fma_f16 v126, v93, v100, v25 op_sel_hi:[1,0,1]
	v_pk_fma_f16 v127, v93, v100, v49 op_sel:[0,1,0]
	v_pk_fma_f16 v128, v93, v101, v50 op_sel_hi:[1,0,1]
	v_pk_fma_f16 v129, v93, v101, v51 op_sel:[0,1,0]
	v_pk_fma_f16 v130, v92, v100, v52 op_sel_hi:[1,0,1]
	v_pk_fma_f16 v131, v92, v100, v22 op_sel:[0,1,0]
	v_pk_fma_f16 v132, v92, v101, v23 op_sel_hi:[1,0,1]
	s_waitcnt vmcnt(1)
	ds_store_b128 v40, v[102:105]
	s_waitcnt vmcnt(0)
	ds_store_b128 v41, v[16:19]
	s_waitcnt lgkmcnt(0)
	s_barrier
	buffer_gl0_inv
	ds_load_2addr_b64 v[16:19], v45 offset1:32
	ds_load_b128 v[22:25], v39 offset:256
	ds_load_b128 v[49:52], v39 offset:272
	;; [unrolled: 1-line block ×4, first 2 shown]
	ds_load_2addr_b64 v[61:64], v45 offset0:64 offset1:96
	ds_load_2addr_b64 v[65:68], v45 offset0:128 offset1:160
	;; [unrolled: 1-line block ×3, first 2 shown]
	ds_load_2addr_b64 v[73:76], v46 offset1:32
	ds_load_2addr_b64 v[77:80], v46 offset0:64 offset1:96
	ds_load_b128 v[81:84], v39 offset:320
	ds_load_b128 v[85:88], v39 offset:336
	ds_load_2addr_b64 v[89:92], v46 offset0:128 offset1:160
	ds_load_2addr_b64 v[93:96], v46 offset0:192 offset1:224
	ds_load_b128 v[97:100], v39 offset:352
	ds_load_b128 v[101:104], v39 offset:368
	ds_load_2addr_b64 v[105:108], v47 offset1:32
	ds_load_2addr_b64 v[109:112], v47 offset0:64 offset1:96
	ds_load_b128 v[113:116], v39 offset:384
	ds_load_b128 v[117:120], v39 offset:400
	ds_load_2addr_b64 v[121:124], v47 offset0:128 offset1:160
	s_waitcnt lgkmcnt(19)
	v_pk_fma_f16 v130, v16, v22, v130 op_sel_hi:[1,0,1]
	v_pk_fma_f16 v131, v16, v22, v131 op_sel:[0,1,0]
	v_pk_fma_f16 v132, v16, v23, v132 op_sel_hi:[1,0,1]
	v_pk_fma_f16 v16, v16, v23, v125 op_sel:[0,1,0]
	v_pk_fma_f16 v125, v17, v22, v126 op_sel_hi:[1,0,1]
	v_pk_fma_f16 v22, v17, v22, v127 op_sel:[0,1,0]
	v_pk_fma_f16 v126, v17, v23, v128 op_sel_hi:[1,0,1]
	v_pk_fma_f16 v17, v17, v23, v129 op_sel:[0,1,0]
	v_pk_fma_f16 v127, v18, v24, v130 op_sel_hi:[1,0,1]
	v_pk_fma_f16 v128, v18, v24, v131 op_sel:[0,1,0]
	v_pk_fma_f16 v129, v18, v25, v132 op_sel_hi:[1,0,1]
	v_pk_fma_f16 v130, v18, v25, v16 op_sel:[0,1,0]
	v_pk_fma_f16 v125, v19, v24, v125 op_sel_hi:[1,0,1]
	v_pk_fma_f16 v131, v19, v24, v22 op_sel:[0,1,0]
	v_pk_fma_f16 v126, v19, v25, v126 op_sel_hi:[1,0,1]
	v_pk_fma_f16 v132, v19, v25, v17 op_sel:[0,1,0]
	s_waitcnt lgkmcnt(15)
	v_pk_fma_f16 v127, v61, v49, v127 op_sel_hi:[1,0,1]
	v_pk_fma_f16 v128, v61, v49, v128 op_sel:[0,1,0]
	v_pk_fma_f16 v129, v61, v50, v129 op_sel_hi:[1,0,1]
	v_pk_fma_f16 v61, v61, v50, v130 op_sel:[0,1,0]
	v_pk_fma_f16 v125, v62, v49, v125 op_sel_hi:[1,0,1]
	v_pk_fma_f16 v49, v62, v49, v131 op_sel:[0,1,0]
	v_pk_fma_f16 v126, v62, v50, v126 op_sel_hi:[1,0,1]
	v_pk_fma_f16 v50, v62, v50, v132 op_sel:[0,1,0]
	v_pk_fma_f16 v127, v63, v51, v127 op_sel_hi:[1,0,1]
	v_pk_fma_f16 v128, v63, v51, v128 op_sel:[0,1,0]
	v_pk_fma_f16 v129, v63, v52, v129 op_sel_hi:[1,0,1]
	v_pk_fma_f16 v130, v63, v52, v61 op_sel:[0,1,0]
	v_pk_fma_f16 v125, v64, v51, v125 op_sel_hi:[1,0,1]
	v_pk_fma_f16 v131, v64, v51, v49 op_sel:[0,1,0]
	v_pk_fma_f16 v126, v64, v52, v126 op_sel_hi:[1,0,1]
	v_pk_fma_f16 v132, v64, v52, v50 op_sel:[0,1,0]
	;; [unrolled: 17-line block ×8, first 2 shown]
	ds_load_2addr_b64 v[16:19], v47 offset0:192 offset1:224
	ds_load_b128 v[22:25], v39 offset:416
	s_waitcnt lgkmcnt(4)
	v_pk_fma_f16 v86, v105, v113, v86 op_sel_hi:[1,0,1]
	v_pk_fma_f16 v90, v105, v113, v90 op_sel:[0,1,0]
	v_pk_fma_f16 v92, v105, v114, v92 op_sel_hi:[1,0,1]
	v_pk_fma_f16 v89, v105, v114, v89 op_sel:[0,1,0]
	;; [unrolled: 2-line block ×8, first 2 shown]
	s_waitcnt lgkmcnt(3)
	v_pk_fma_f16 v86, v109, v117, v86 op_sel_hi:[1,0,1]
	v_pk_fma_f16 v90, v109, v117, v90 op_sel:[0,1,0]
	v_pk_fma_f16 v92, v109, v118, v92 op_sel_hi:[1,0,1]
	v_pk_fma_f16 v89, v109, v118, v89 op_sel:[0,1,0]
	;; [unrolled: 2-line block ×4, first 2 shown]
	ds_load_b128 v[49:52], v39 offset:432
	ds_load_2addr_b64 v[61:64], v48 offset1:32
	v_pk_fma_f16 v86, v111, v119, v86 op_sel_hi:[1,0,1]
	v_pk_fma_f16 v90, v111, v119, v90 op_sel:[0,1,0]
	v_pk_fma_f16 v92, v111, v120, v92 op_sel_hi:[1,0,1]
	v_pk_fma_f16 v89, v111, v120, v89 op_sel:[0,1,0]
	;; [unrolled: 2-line block ×4, first 2 shown]
	ds_load_2addr_b64 v[53:56], v48 offset0:64 offset1:96
	ds_load_b128 v[65:68], v39 offset:448
	s_waitcnt lgkmcnt(4)
	v_pk_fma_f16 v86, v121, v22, v86 op_sel_hi:[1,0,1]
	v_pk_fma_f16 v90, v121, v22, v90 op_sel:[0,1,0]
	v_pk_fma_f16 v92, v121, v23, v92 op_sel_hi:[1,0,1]
	v_pk_fma_f16 v89, v121, v23, v89 op_sel:[0,1,0]
	;; [unrolled: 2-line block ×8, first 2 shown]
	s_waitcnt lgkmcnt(3)
	v_pk_fma_f16 v25, v16, v49, v86 op_sel_hi:[1,0,1]
	v_pk_fma_f16 v85, v16, v49, v87 op_sel:[0,1,0]
	v_pk_fma_f16 v86, v16, v50, v88 op_sel_hi:[1,0,1]
	v_pk_fma_f16 v16, v16, v50, v89 op_sel:[0,1,0]
	v_pk_fma_f16 v87, v17, v49, v90 op_sel_hi:[1,0,1]
	v_pk_fma_f16 v22, v17, v49, v22 op_sel:[0,1,0]
	v_pk_fma_f16 v24, v17, v50, v24 op_sel_hi:[1,0,1]
	v_pk_fma_f16 v17, v17, v50, v23 op_sel:[0,1,0]
	ds_load_b128 v[57:60], v39 offset:464
	ds_load_2addr_b64 v[69:72], v48 offset0:128 offset1:160
	v_pk_fma_f16 v23, v18, v51, v25 op_sel_hi:[1,0,1]
	v_pk_fma_f16 v25, v18, v51, v85 op_sel:[0,1,0]
	v_pk_fma_f16 v49, v18, v52, v86 op_sel_hi:[1,0,1]
	v_pk_fma_f16 v16, v18, v52, v16 op_sel:[0,1,0]
	;; [unrolled: 2-line block ×4, first 2 shown]
	ds_load_2addr_b64 v[73:76], v48 offset0:192 offset1:224
	ds_load_b128 v[81:84], v39 offset:480
	s_waitcnt lgkmcnt(4)
	v_pk_fma_f16 v19, v61, v65, v23 op_sel_hi:[1,0,1]
	v_pk_fma_f16 v23, v61, v65, v25 op_sel:[0,1,0]
	v_pk_fma_f16 v25, v61, v66, v49 op_sel_hi:[1,0,1]
	v_pk_fma_f16 v16, v61, v66, v16 op_sel:[0,1,0]
	;; [unrolled: 2-line block ×8, first 2 shown]
	ds_load_b128 v[77:80], v39 offset:496
	s_waitcnt lgkmcnt(4)
	v_pk_fma_f16 v19, v53, v57, v19 op_sel_hi:[1,0,1]
	v_pk_fma_f16 v23, v53, v57, v23 op_sel:[0,1,0]
	v_pk_fma_f16 v25, v53, v58, v25 op_sel_hi:[1,0,1]
	v_pk_fma_f16 v16, v53, v58, v16 op_sel:[0,1,0]
	;; [unrolled: 2-line block ×4, first 2 shown]
	s_waitcnt lgkmcnt(0)
	s_barrier
	buffer_gl0_inv
	s_load_b32 s2, s[34:35], 0x4
	v_pk_fma_f16 v19, v55, v59, v19 op_sel_hi:[1,0,1]
	v_pk_fma_f16 v23, v55, v59, v23 op_sel:[0,1,0]
	v_pk_fma_f16 v25, v55, v60, v25 op_sel_hi:[1,0,1]
	v_pk_fma_f16 v16, v55, v60, v16 op_sel:[0,1,0]
	;; [unrolled: 2-line block ×16, first 2 shown]
	s_waitcnt lgkmcnt(0)
	s_lshl_b32 s2, s2, 6
	v_pk_fma_f16 v55, v75, v79, v19 op_sel_hi:[1,0,1]
	v_pk_fma_f16 v53, v75, v79, v23 op_sel:[0,1,0]
	v_pk_fma_f16 v51, v75, v80, v25 op_sel_hi:[1,0,1]
	v_pk_fma_f16 v50, v75, v80, v16 op_sel:[0,1,0]
	;; [unrolled: 2-line block ×4, first 2 shown]
	s_add_i32 s29, s2, s29
	s_delay_alu instid0(SALU_CYCLE_1)
	s_cmp_ge_i32 s29, s28
	s_cbranch_scc0 .LBB0_17
; %bb.18:
	v_dual_mov_b32 v5, 32 :: v_dual_mov_b32 v8, v11
.LBB0_19:
	s_delay_alu instid0(VALU_DEP_1)
	v_cmp_lt_i32_e32 vcc_lo, v32, v5
	s_cmp_lg_u64 s[44:45], 0
	s_cselect_b32 s2, -1, 0
	s_cmp_eq_u32 s14, 0
	v_cndmask_b32_e32 v4, v8, v32, vcc_lo
	v_cmp_lt_i32_e32 vcc_lo, v31, v5
	s_cselect_b32 s3, -1, 0
	s_delay_alu instid0(SALU_CYCLE_1) | instskip(NEXT) | instid1(VALU_DEP_2)
	s_and_b32 s2, s3, s2
	v_lshlrev_b32_e32 v4, 2, v4
	ds_bpermute_b32 v9, v4, v34
	s_waitcnt lgkmcnt(0)
	v_add_f32_e32 v9, v34, v9
	ds_bpermute_b32 v7, v4, v21
	ds_bpermute_b32 v6, v4, v20
	;; [unrolled: 1-line block ×3, first 2 shown]
	s_waitcnt lgkmcnt(2)
	v_add_f32_e32 v7, v21, v7
	v_cndmask_b32_e32 v10, v8, v31, vcc_lo
	v_cmp_lt_i32_e32 vcc_lo, v30, v5
	s_waitcnt lgkmcnt(0)
	v_add_f32_e32 v4, v33, v4
	s_delay_alu instid0(VALU_DEP_3)
	v_lshlrev_b32_e32 v10, 2, v10
	v_cndmask_b32_e32 v16, v8, v30, vcc_lo
	v_cmp_lt_i32_e32 vcc_lo, v29, v5
	ds_bpermute_b32 v15, v10, v9
	s_waitcnt lgkmcnt(0)
	v_add_f32_e32 v9, v9, v15
	ds_bpermute_b32 v14, v10, v7
	s_waitcnt lgkmcnt(0)
	v_dual_add_f32 v7, v7, v14 :: v_dual_lshlrev_b32 v16, 2, v16
	v_add_f32_e32 v6, v20, v6
	ds_bpermute_b32 v14, v16, v9
	ds_bpermute_b32 v11, v10, v6
	;; [unrolled: 1-line block ×3, first 2 shown]
	s_waitcnt lgkmcnt(1)
	v_dual_add_f32 v9, v9, v14 :: v_dual_add_f32 v6, v6, v11
	s_waitcnt lgkmcnt(0)
	v_add_f32_e32 v4, v4, v10
	ds_bpermute_b32 v11, v16, v7
	ds_bpermute_b32 v10, v16, v6
	;; [unrolled: 1-line block ×3, first 2 shown]
	v_cndmask_b32_e32 v16, v8, v29, vcc_lo
	v_cmp_lt_i32_e32 vcc_lo, v28, v5
	v_cndmask_b32_e32 v5, v8, v28, vcc_lo
	s_and_b32 vcc_lo, exec_lo, s2
	s_delay_alu instid0(VALU_DEP_1)
	v_lshlrev_b32_e32 v5, 2, v5
	s_waitcnt lgkmcnt(1)
	v_dual_add_f32 v7, v7, v11 :: v_dual_add_f32 v6, v6, v10
	s_waitcnt lgkmcnt(0)
	v_add_f32_e32 v4, v4, v15
	v_lshlrev_b32_e32 v16, 2, v16
	ds_bpermute_b32 v14, v16, v9
	ds_bpermute_b32 v15, v16, v4
	s_waitcnt lgkmcnt(0)
	v_dual_add_f32 v8, v9, v14 :: v_dual_add_f32 v9, v4, v15
	ds_bpermute_b32 v10, v16, v6
	ds_bpermute_b32 v11, v16, v7
	;; [unrolled: 1-line block ×3, first 2 shown]
	s_waitcnt lgkmcnt(1)
	v_dual_add_f32 v6, v6, v10 :: v_dual_add_f32 v7, v7, v11
	ds_bpermute_b32 v11, v5, v8
	ds_bpermute_b32 v4, v5, v6
	;; [unrolled: 1-line block ×3, first 2 shown]
	s_waitcnt lgkmcnt(0)
	v_dual_add_f32 v4, v6, v4 :: v_dual_add_f32 v5, v7, v10
	v_dual_add_f32 v6, v8, v11 :: v_dual_add_f32 v7, v9, v14
	s_cbranch_vccz .LBB0_22
; %bb.20:
	v_dual_max_f32 v15, v1, v1 :: v_dual_add_nc_u32 v8, s52, v26
	s_delay_alu instid0(VALU_DEP_1) | instskip(NEXT) | instid1(VALU_DEP_1)
	v_ashrrev_i32_e32 v9, 31, v8
	v_lshlrev_b64 v[8:9], 2, v[8:9]
	s_delay_alu instid0(VALU_DEP_1) | instskip(NEXT) | instid1(VALU_DEP_2)
	v_add_co_u32 v8, vcc_lo, s44, v8
	v_add_co_ci_u32_e32 v9, vcc_lo, s45, v9, vcc_lo
	global_load_b128 v[8:11], v[8:9], off
	v_max_f32_e32 v14, v0, v0
	s_waitcnt vmcnt(0)
	v_dual_max_f32 v16, v2, v2 :: v_dual_max_f32 v17, v8, v8
	v_dual_max_f32 v19, v9, v9 :: v_dual_max_f32 v20, v10, v10
	s_delay_alu instid0(VALU_DEP_2) | instskip(NEXT) | instid1(VALU_DEP_2)
	v_dual_max_f32 v21, v11, v11 :: v_dual_max_f32 v14, v14, v17
	v_dual_max_f32 v15, v15, v19 :: v_dual_max_f32 v16, v16, v20
	v_max_f32_e32 v18, v3, v3
	s_delay_alu instid0(VALU_DEP_2) | instskip(SKIP_1) | instid1(VALU_DEP_3)
	v_dual_sub_f32 v8, v8, v14 :: v_dual_sub_f32 v9, v9, v15
	v_sub_f32_e32 v19, v1, v15
	v_dual_max_f32 v17, v18, v21 :: v_dual_sub_f32 v18, v0, v14
	v_sub_f32_e32 v20, v2, v16
	s_delay_alu instid0(VALU_DEP_2)
	v_dual_sub_f32 v10, v10, v16 :: v_dual_sub_f32 v11, v11, v17
	v_dual_sub_f32 v21, v3, v17 :: v_dual_mov_b32 v0, v14
	v_dual_mov_b32 v1, v15 :: v_dual_mov_b32 v2, v16
	v_mov_b32_e32 v3, v17
	v_dual_mul_f32 v15, 0x3fb8aa3b, v8 :: v_dual_mul_f32 v14, 0x3fb8aa3b, v18
	v_dual_mul_f32 v17, 0x3fb8aa3b, v9 :: v_dual_mul_f32 v16, 0x3fb8aa3b, v19
	;; [unrolled: 1-line block ×3, first 2 shown]
	v_mul_f32_e32 v25, 0x3fb8aa3b, v11
	s_delay_alu instid0(VALU_DEP_4)
	v_fma_f32 v28, 0x3fb8aa3b, v18, -v14
	v_rndne_f32_e32 v29, v14
	v_fma_f32 v30, 0x3fb8aa3b, v8, -v15
	v_rndne_f32_e32 v31, v15
	v_rndne_f32_e32 v35, v17
	;; [unrolled: 1-line block ×3, first 2 shown]
	v_fmac_f32_e32 v28, 0x32a5705f, v18
	v_sub_f32_e32 v14, v14, v29
	v_dual_mul_f32 v24, 0x3fb8aa3b, v21 :: v_dual_sub_f32 v15, v15, v31
	v_fma_f32 v32, 0x3fb8aa3b, v19, -v16
	v_fma_f32 v34, 0x3fb8aa3b, v9, -v17
	;; [unrolled: 1-line block ×3, first 2 shown]
	v_rndne_f32_e32 v43, v25
	v_dual_fmac_f32 v30, 0x32a5705f, v8 :: v_dual_sub_f32 v17, v17, v35
	v_dual_sub_f32 v23, v23, v39 :: v_dual_add_f32 v14, v14, v28
	v_rndne_f32_e32 v33, v16
	v_fma_f32 v42, 0x3fb8aa3b, v11, -v25
	v_dual_fmac_f32 v38, 0x32a5705f, v10 :: v_dual_sub_f32 v25, v25, v43
	v_dual_fmac_f32 v32, 0x32a5705f, v19 :: v_dual_add_f32 v15, v15, v30
	v_exp_f32_e32 v14, v14
	v_cvt_i32_f32_e32 v29, v29
	s_delay_alu instid0(VALU_DEP_3) | instskip(SKIP_3) | instid1(VALU_DEP_3)
	v_dual_fmac_f32 v34, 0x32a5705f, v9 :: v_dual_add_f32 v23, v23, v38
	v_sub_f32_e32 v16, v16, v33
	v_exp_f32_e32 v15, v15
	v_fma_f32 v36, 0x3fb8aa3b, v20, -v22
	v_add_f32_e32 v17, v17, v34
	v_rndne_f32_e32 v37, v22
	v_cvt_i32_f32_e32 v31, v31
	v_add_f32_e32 v16, v16, v32
	v_ldexp_f32 v14, v14, v29
	v_cmp_ngt_f32_e32 vcc_lo, 0xc2ce8ed0, v18
	v_fmac_f32_e32 v42, 0x32a5705f, v11
	v_fmac_f32_e32 v36, 0x32a5705f, v20
	v_exp_f32_e32 v16, v16
	v_ldexp_f32 v15, v15, v31
	v_cndmask_b32_e32 v14, 0, v14, vcc_lo
	v_cmp_ngt_f32_e32 vcc_lo, 0xc2ce8ed0, v8
	v_sub_f32_e32 v22, v22, v37
	v_cvt_i32_f32_e32 v33, v33
	v_add_f32_e32 v25, v25, v42
	v_exp_f32_e32 v17, v17
	s_delay_alu instid0(VALU_DEP_3)
	v_dual_cndmask_b32 v15, 0, v15 :: v_dual_add_f32 v22, v22, v36
	v_cvt_i32_f32_e32 v35, v35
	v_ldexp_f32 v16, v16, v33
	v_cmp_ngt_f32_e32 vcc_lo, 0xc2ce8ed0, v19
	v_cvt_i32_f32_e32 v37, v37
	v_exp_f32_e32 v22, v22
	v_exp_f32_e32 v23, v23
	v_fma_f32 v40, 0x3fb8aa3b, v21, -v24
	s_delay_alu instid0(TRANS32_DEP_3)
	v_ldexp_f32 v17, v17, v35
	v_cndmask_b32_e32 v16, 0, v16, vcc_lo
	v_cmp_ngt_f32_e32 vcc_lo, 0xc2ce8ed0, v9
	v_rndne_f32_e32 v41, v24
	v_cvt_i32_f32_e32 v39, v39
	v_exp_f32_e32 v25, v25
	v_cvt_i32_f32_e32 v30, v43
	v_ldexp_f32 v22, v22, v37
	v_cndmask_b32_e32 v17, 0, v17, vcc_lo
	v_cmp_ngt_f32_e32 vcc_lo, 0xc2ce8ed0, v20
	v_sub_f32_e32 v24, v24, v41
	v_ldexp_f32 v23, v23, v39
	v_cvt_i32_f32_e32 v28, v41
	v_cndmask_b32_e32 v22, 0, v22, vcc_lo
	v_cmp_ngt_f32_e32 vcc_lo, 0xc2ce8ed0, v10
	v_fmac_f32_e32 v40, 0x32a5705f, v21
	v_ldexp_f32 v25, v25, v30
	s_delay_alu instid0(VALU_DEP_2) | instskip(SKIP_1) | instid1(VALU_DEP_2)
	v_dual_cndmask_b32 v23, 0, v23 :: v_dual_add_f32 v24, v24, v40
	v_cmp_ngt_f32_e32 vcc_lo, 0xc2ce8ed0, v21
	v_exp_f32_e32 v24, v24
	s_waitcnt_depctr 0xfff
	v_ldexp_f32 v24, v24, v28
	s_delay_alu instid0(VALU_DEP_1)
	v_cndmask_b32_e32 v24, 0, v24, vcc_lo
	v_cmp_ngt_f32_e32 vcc_lo, 0xc2ce8ed0, v11
	v_cndmask_b32_e32 v25, 0, v25, vcc_lo
	v_cmp_nlt_f32_e32 vcc_lo, 0x42b17218, v18
	v_cndmask_b32_e32 v14, 0x7f800000, v14, vcc_lo
	v_cmp_nlt_f32_e32 vcc_lo, 0x42b17218, v8
	;; [unrolled: 2-line block ×3, first 2 shown]
	s_delay_alu instid0(VALU_DEP_2) | instskip(SKIP_4) | instid1(VALU_DEP_3)
	v_dual_fmac_f32 v8, v4, v14 :: v_dual_cndmask_b32 v15, 0x7f800000, v16
	v_cmp_nlt_f32_e32 vcc_lo, 0x42b17218, v9
	v_cvt_f16_f32_e32 v4, v14
	v_cndmask_b32_e32 v9, 0x7f800000, v17, vcc_lo
	v_cmp_nlt_f32_e32 vcc_lo, 0x42b17218, v20
	v_pk_mul_f16 v55, v4, v55 op_sel_hi:[0,1]
	v_pk_mul_f16 v56, v4, v56 op_sel_hi:[0,1]
	s_delay_alu instid0(VALU_DEP_4)
	v_dual_mov_b32 v4, v8 :: v_dual_fmac_f32 v9, v5, v15
	v_cndmask_b32_e32 v16, 0x7f800000, v22, vcc_lo
	v_cmp_nlt_f32_e32 vcc_lo, 0x42b17218, v10
	v_cvt_f16_f32_e32 v5, v15
	v_cndmask_b32_e32 v10, 0x7f800000, v23, vcc_lo
	v_cmp_nlt_f32_e32 vcc_lo, 0x42b17218, v21
	s_delay_alu instid0(VALU_DEP_3) | instskip(SKIP_1) | instid1(VALU_DEP_4)
	v_pk_mul_f16 v53, v5, v53 op_sel_hi:[0,1]
	v_pk_mul_f16 v54, v5, v54 op_sel_hi:[0,1]
	v_dual_mov_b32 v5, v9 :: v_dual_fmac_f32 v10, v6, v16
	v_cndmask_b32_e32 v17, 0x7f800000, v24, vcc_lo
	v_cmp_nlt_f32_e32 vcc_lo, 0x42b17218, v11
	v_cvt_f16_f32_e32 v6, v16
	v_cndmask_b32_e32 v11, 0x7f800000, v25, vcc_lo
	s_delay_alu instid0(VALU_DEP_2) | instskip(SKIP_1) | instid1(VALU_DEP_3)
	v_pk_mul_f16 v51, v6, v51 op_sel_hi:[0,1]
	v_pk_mul_f16 v52, v6, v52 op_sel_hi:[0,1]
	v_dual_mov_b32 v6, v10 :: v_dual_fmac_f32 v11, v7, v17
	v_cvt_f16_f32_e32 v7, v17
	s_delay_alu instid0(VALU_DEP_1) | instskip(SKIP_1) | instid1(VALU_DEP_4)
	v_pk_mul_f16 v50, v7, v50 op_sel_hi:[0,1]
	v_pk_mul_f16 v49, v7, v49 op_sel_hi:[0,1]
	v_mov_b32_e32 v7, v11
	s_mov_b32 s2, exec_lo
	v_cmpx_gt_i32_e64 s26, v12
	s_cbranch_execnz .LBB0_23
.LBB0_21:
	s_nop 0
	s_sendmsg sendmsg(MSG_DEALLOC_VGPRS)
	s_endpgm
.LBB0_22:
	s_delay_alu instid0(VALU_DEP_1) | instskip(NEXT) | instid1(VALU_DEP_3)
	v_dual_mov_b32 v11, v7 :: v_dual_mov_b32 v10, v6
	v_dual_mov_b32 v9, v5 :: v_dual_mov_b32 v8, v4
	s_mov_b32 s2, exec_lo
	v_cmpx_gt_i32_e64 s26, v12
	s_cbranch_execz .LBB0_21
.LBB0_23:
	s_load_b32 s1, s[0:1], 0xd4
	v_mov_b32_e32 v16, 1.0
	s_waitcnt lgkmcnt(0)
	s_cmp_lg_u32 s1, 1
	s_cselect_b32 s3, -1, 0
	s_cmp_eq_u32 s1, 1
	s_cselect_b32 s2, -1, 0
	s_and_b32 vcc_lo, exec_lo, s3
	s_cbranch_vccnz .LBB0_25
; %bb.24:
	v_div_scale_f32 v14, null, v4, v4, 1.0
	s_delay_alu instid0(VALU_DEP_1) | instskip(SKIP_2) | instid1(VALU_DEP_1)
	v_rcp_f32_e32 v15, v14
	s_waitcnt_depctr 0xfff
	v_fma_f32 v16, -v14, v15, 1.0
	v_fmac_f32_e32 v15, v16, v15
	v_div_scale_f32 v16, vcc_lo, 1.0, v4, 1.0
	s_delay_alu instid0(VALU_DEP_1) | instskip(NEXT) | instid1(VALU_DEP_1)
	v_mul_f32_e32 v17, v16, v15
	v_fma_f32 v18, -v14, v17, v16
	s_delay_alu instid0(VALU_DEP_1) | instskip(NEXT) | instid1(VALU_DEP_1)
	v_fmac_f32_e32 v17, v18, v15
	v_fma_f32 v14, -v14, v17, v16
	s_delay_alu instid0(VALU_DEP_1) | instskip(NEXT) | instid1(VALU_DEP_1)
	v_div_fmas_f32 v14, v14, v15, v17
	v_div_fixup_f32 v16, v14, v4, 1.0
.LBB0_25:
	v_mad_u64_u32 v[14:15], null, s33, s26, v[12:13]
	v_cmp_eq_u32_e32 vcc_lo, 0, v13
	v_cvt_f32_f16_e32 v18, v56
	v_cvt_f32_f16_e32 v17, v55
	s_delay_alu instid0(VALU_DEP_2) | instskip(SKIP_1) | instid1(VALU_DEP_3)
	v_mul_f32_e32 v19, v16, v18
	v_mul_lo_u32 v4, v14, s27
	v_mul_f32_e32 v17, v16, v17
	s_delay_alu instid0(VALU_DEP_2) | instskip(NEXT) | instid1(VALU_DEP_1)
	v_add3_u32 v4, s52, v26, v4
	v_mad_u64_u32 v[14:15], null, s1, v4, s[14:15]
	v_lshrrev_b32_e32 v4, 16, v55
	v_lshrrev_b32_e32 v15, 16, v56
	s_delay_alu instid0(VALU_DEP_2) | instskip(SKIP_2) | instid1(VALU_DEP_4)
	v_cvt_f32_f16_e32 v4, v4
	v_mov_b32_e32 v13, 0
	v_lshl_add_u32 v12, v14, 7, v27
	v_cvt_f32_f16_e32 v15, v15
	s_delay_alu instid0(VALU_DEP_4) | instskip(NEXT) | instid1(VALU_DEP_3)
	v_mul_f32_e32 v18, v16, v4
	v_lshlrev_b64 v[12:13], 2, v[12:13]
	s_delay_alu instid0(VALU_DEP_3) | instskip(NEXT) | instid1(VALU_DEP_2)
	v_mul_f32_e32 v20, v16, v15
	v_add_co_u32 v12, s0, s48, v12
	s_delay_alu instid0(VALU_DEP_1)
	v_add_co_ci_u32_e64 v13, s0, s49, v13, s0
	s_and_b32 s0, vcc_lo, s3
	global_store_b128 v[12:13], v[17:20], off
	s_and_saveexec_b32 s3, s0
	s_cbranch_execz .LBB0_27
; %bb.26:
	v_ashrrev_i32_e32 v15, 31, v14
	v_mov_b32_e32 v16, v8
	s_delay_alu instid0(VALU_DEP_2) | instskip(SKIP_1) | instid1(VALU_DEP_2)
	v_lshlrev_b64 v[12:13], 3, v[14:15]
	v_mov_b32_e32 v15, v0
	v_add_co_u32 v12, vcc_lo, s50, v12
	s_delay_alu instid0(VALU_DEP_3)
	v_add_co_ci_u32_e32 v13, vcc_lo, s51, v13, vcc_lo
	global_store_b64 v[12:13], v[15:16], off
.LBB0_27:
	s_or_b32 exec_lo, exec_lo, s3
	v_cndmask_b32_e64 v12, 0, 1, s2
	v_mov_b32_e32 v0, 1.0
	s_and_not1_b32 vcc_lo, exec_lo, s2
	s_cbranch_vccnz .LBB0_29
; %bb.28:
	v_div_scale_f32 v0, null, v5, v5, 1.0
	s_delay_alu instid0(VALU_DEP_1) | instskip(SKIP_2) | instid1(VALU_DEP_1)
	v_rcp_f32_e32 v4, v0
	s_waitcnt_depctr 0xfff
	v_fma_f32 v8, -v0, v4, 1.0
	v_fmac_f32_e32 v4, v8, v4
	v_div_scale_f32 v8, vcc_lo, 1.0, v5, 1.0
	s_delay_alu instid0(VALU_DEP_1) | instskip(NEXT) | instid1(VALU_DEP_1)
	v_mul_f32_e32 v13, v8, v4
	v_fma_f32 v15, -v0, v13, v8
	s_delay_alu instid0(VALU_DEP_1) | instskip(NEXT) | instid1(VALU_DEP_1)
	v_fmac_f32_e32 v13, v15, v4
	v_fma_f32 v0, -v0, v13, v8
	s_delay_alu instid0(VALU_DEP_1) | instskip(NEXT) | instid1(VALU_DEP_1)
	v_div_fmas_f32 v0, v0, v4, v13
	v_div_fixup_f32 v0, v0, v5, 1.0
.LBB0_29:
	v_cvt_f32_f16_e32 v15, v53
	v_add_nc_u32_e32 v4, s1, v14
	v_cvt_f32_f16_e32 v16, v54
	v_mov_b32_e32 v14, 0
	v_lshrrev_b32_e32 v5, 16, v53
	v_lshrrev_b32_e32 v8, 16, v54
	v_lshl_add_u32 v13, v4, 7, v27
	s_delay_alu instid0(VALU_DEP_3) | instskip(NEXT) | instid1(VALU_DEP_3)
	v_cvt_f32_f16_e32 v5, v5
	v_cvt_f32_f16_e32 v8, v8
	s_delay_alu instid0(VALU_DEP_3)
	v_lshlrev_b64 v[17:18], 2, v[13:14]
	v_mul_f32_e32 v13, v0, v15
	v_mul_f32_e32 v15, v0, v16
	;; [unrolled: 1-line block ×4, first 2 shown]
	v_add_co_u32 v17, vcc_lo, s48, v17
	v_add_co_ci_u32_e32 v18, vcc_lo, s49, v18, vcc_lo
	global_store_b128 v[17:18], v[13:16], off
	s_and_saveexec_b32 s2, s0
	s_cbranch_execz .LBB0_31
; %bb.30:
	v_ashrrev_i32_e32 v5, 31, v4
	v_mov_b32_e32 v8, v1
	s_delay_alu instid0(VALU_DEP_2) | instskip(NEXT) | instid1(VALU_DEP_1)
	v_lshlrev_b64 v[13:14], 3, v[4:5]
	v_add_co_u32 v13, vcc_lo, s50, v13
	s_delay_alu instid0(VALU_DEP_2)
	v_add_co_ci_u32_e32 v14, vcc_lo, s51, v14, vcc_lo
	global_store_b64 v[13:14], v[8:9], off
.LBB0_31:
	s_or_b32 exec_lo, exec_lo, s2
	v_cmp_ne_u32_e32 vcc_lo, 1, v12
	v_mov_b32_e32 v1, 1.0
	s_cbranch_vccnz .LBB0_33
; %bb.32:
	v_div_scale_f32 v0, null, v6, v6, 1.0
	s_delay_alu instid0(VALU_DEP_1) | instskip(SKIP_2) | instid1(VALU_DEP_1)
	v_rcp_f32_e32 v1, v0
	s_waitcnt_depctr 0xfff
	v_fma_f32 v5, -v0, v1, 1.0
	v_fmac_f32_e32 v1, v5, v1
	v_div_scale_f32 v5, vcc_lo, 1.0, v6, 1.0
	s_delay_alu instid0(VALU_DEP_1) | instskip(NEXT) | instid1(VALU_DEP_1)
	v_mul_f32_e32 v8, v5, v1
	v_fma_f32 v9, -v0, v8, v5
	s_delay_alu instid0(VALU_DEP_1) | instskip(NEXT) | instid1(VALU_DEP_1)
	v_fmac_f32_e32 v8, v9, v1
	v_fma_f32 v0, -v0, v8, v5
	s_delay_alu instid0(VALU_DEP_1) | instskip(NEXT) | instid1(VALU_DEP_1)
	v_div_fmas_f32 v0, v0, v1, v8
	v_div_fixup_f32 v1, v0, v6, 1.0
.LBB0_33:
	v_dual_mov_b32 v5, 0 :: v_dual_add_nc_u32 v0, s1, v4
	v_lshrrev_b32_e32 v6, 16, v51
	v_lshrrev_b32_e32 v8, 16, v52
	v_cvt_f32_f16_e32 v9, v51
	s_delay_alu instid0(VALU_DEP_4)
	v_lshl_add_u32 v4, v0, 7, v27
	v_cvt_f32_f16_e32 v14, v52
	v_cvt_f32_f16_e32 v6, v6
	;; [unrolled: 1-line block ×3, first 2 shown]
	v_mul_f32_e32 v13, v1, v9
	v_lshlrev_b64 v[4:5], 2, v[4:5]
	v_mul_f32_e32 v15, v1, v14
	v_mul_f32_e32 v14, v1, v6
	;; [unrolled: 1-line block ×3, first 2 shown]
	s_delay_alu instid0(VALU_DEP_4)
	v_add_co_u32 v4, vcc_lo, s48, v4
	v_add_co_ci_u32_e32 v5, vcc_lo, s49, v5, vcc_lo
	global_store_b128 v[4:5], v[13:16], off
	s_and_saveexec_b32 s2, s0
	s_cbranch_execz .LBB0_35
; %bb.34:
	v_ashrrev_i32_e32 v1, 31, v0
	v_mov_b32_e32 v9, v2
	s_delay_alu instid0(VALU_DEP_2) | instskip(NEXT) | instid1(VALU_DEP_1)
	v_lshlrev_b64 v[4:5], 3, v[0:1]
	v_add_co_u32 v4, vcc_lo, s50, v4
	s_delay_alu instid0(VALU_DEP_2)
	v_add_co_ci_u32_e32 v5, vcc_lo, s51, v5, vcc_lo
	global_store_b64 v[4:5], v[9:10], off
.LBB0_35:
	s_or_b32 exec_lo, exec_lo, s2
	v_cmp_ne_u32_e32 vcc_lo, 1, v12
	v_mov_b32_e32 v1, 1.0
	s_cbranch_vccnz .LBB0_37
; %bb.36:
	v_div_scale_f32 v1, null, v7, v7, 1.0
	s_delay_alu instid0(VALU_DEP_1) | instskip(SKIP_2) | instid1(VALU_DEP_1)
	v_rcp_f32_e32 v2, v1
	s_waitcnt_depctr 0xfff
	v_fma_f32 v4, -v1, v2, 1.0
	v_fmac_f32_e32 v2, v4, v2
	v_div_scale_f32 v4, vcc_lo, 1.0, v7, 1.0
	s_delay_alu instid0(VALU_DEP_1) | instskip(NEXT) | instid1(VALU_DEP_1)
	v_mul_f32_e32 v5, v4, v2
	v_fma_f32 v6, -v1, v5, v4
	s_delay_alu instid0(VALU_DEP_1) | instskip(NEXT) | instid1(VALU_DEP_1)
	v_fmac_f32_e32 v5, v6, v2
	v_fma_f32 v1, -v1, v5, v4
	s_delay_alu instid0(VALU_DEP_1) | instskip(NEXT) | instid1(VALU_DEP_1)
	v_div_fmas_f32 v1, v1, v2, v5
	v_div_fixup_f32 v1, v1, v7, 1.0
.LBB0_37:
	v_dual_mov_b32 v5, 0 :: v_dual_add_nc_u32 v0, s1, v0
	v_lshrrev_b32_e32 v2, 16, v50
	v_lshrrev_b32_e32 v6, 16, v49
	v_cvt_f32_f16_e32 v7, v50
	s_delay_alu instid0(VALU_DEP_4) | instskip(SKIP_3) | instid1(VALU_DEP_4)
	v_lshl_add_u32 v4, v0, 7, v27
	v_cvt_f32_f16_e32 v10, v49
	v_cvt_f32_f16_e32 v2, v2
	;; [unrolled: 1-line block ×3, first 2 shown]
	v_lshlrev_b64 v[8:9], 2, v[4:5]
	v_mul_f32_e32 v4, v1, v7
	v_mul_f32_e32 v6, v1, v10
	;; [unrolled: 1-line block ×4, first 2 shown]
	v_add_co_u32 v1, vcc_lo, s48, v8
	v_add_co_ci_u32_e32 v2, vcc_lo, s49, v9, vcc_lo
	global_store_b128 v[1:2], v[4:7], off
	s_and_b32 exec_lo, exec_lo, s0
	s_cbranch_execz .LBB0_21
; %bb.38:
	v_ashrrev_i32_e32 v1, 31, v0
	v_mov_b32_e32 v10, v3
	s_delay_alu instid0(VALU_DEP_2) | instskip(NEXT) | instid1(VALU_DEP_1)
	v_lshlrev_b64 v[0:1], 3, v[0:1]
	v_add_co_u32 v0, vcc_lo, s50, v0
	s_delay_alu instid0(VALU_DEP_2)
	v_add_co_ci_u32_e32 v1, vcc_lo, s51, v1, vcc_lo
	global_store_b64 v[0:1], v[10:11], off
	s_nop 0
	s_sendmsg sendmsg(MSG_DEALLOC_VGPRS)
	s_endpgm
	.section	.rodata,"a",@progbits
	.p2align	6, 0x0
	.amdhsa_kernel _ZL15flash_attn_tileILi192ELi128ELi2ELi16ELb0EEvPKcS1_S1_S1_S1_PKiPfP15HIP_vector_typeIfLj2EEffffjfiS5_IjLj3EEiiiiiiiiiiiliiliiiiil
		.amdhsa_group_segment_fixed_size 25600
		.amdhsa_private_segment_fixed_size 0
		.amdhsa_kernarg_size 464
		.amdhsa_user_sgpr_count 13
		.amdhsa_user_sgpr_dispatch_ptr 0
		.amdhsa_user_sgpr_queue_ptr 0
		.amdhsa_user_sgpr_kernarg_segment_ptr 1
		.amdhsa_user_sgpr_dispatch_id 0
		.amdhsa_user_sgpr_private_segment_size 0
		.amdhsa_wavefront_size32 1
		.amdhsa_uses_dynamic_stack 0
		.amdhsa_enable_private_segment 0
		.amdhsa_system_sgpr_workgroup_id_x 1
		.amdhsa_system_sgpr_workgroup_id_y 1
		.amdhsa_system_sgpr_workgroup_id_z 1
		.amdhsa_system_sgpr_workgroup_info 0
		.amdhsa_system_vgpr_workitem_id 1
		.amdhsa_next_free_vgpr 138
		.amdhsa_next_free_sgpr 53
		.amdhsa_reserve_vcc 1
		.amdhsa_float_round_mode_32 0
		.amdhsa_float_round_mode_16_64 0
		.amdhsa_float_denorm_mode_32 3
		.amdhsa_float_denorm_mode_16_64 3
		.amdhsa_dx10_clamp 1
		.amdhsa_ieee_mode 1
		.amdhsa_fp16_overflow 0
		.amdhsa_workgroup_processor_mode 1
		.amdhsa_memory_ordered 1
		.amdhsa_forward_progress 0
		.amdhsa_shared_vgpr_count 0
		.amdhsa_exception_fp_ieee_invalid_op 0
		.amdhsa_exception_fp_denorm_src 0
		.amdhsa_exception_fp_ieee_div_zero 0
		.amdhsa_exception_fp_ieee_overflow 0
		.amdhsa_exception_fp_ieee_underflow 0
		.amdhsa_exception_fp_ieee_inexact 0
		.amdhsa_exception_int_div_zero 0
	.end_amdhsa_kernel
	.section	.text._ZL15flash_attn_tileILi192ELi128ELi2ELi16ELb0EEvPKcS1_S1_S1_S1_PKiPfP15HIP_vector_typeIfLj2EEffffjfiS5_IjLj3EEiiiiiiiiiiiliiliiiiil,"axG",@progbits,_ZL15flash_attn_tileILi192ELi128ELi2ELi16ELb0EEvPKcS1_S1_S1_S1_PKiPfP15HIP_vector_typeIfLj2EEffffjfiS5_IjLj3EEiiiiiiiiiiiliiliiiiil,comdat
.Lfunc_end0:
	.size	_ZL15flash_attn_tileILi192ELi128ELi2ELi16ELb0EEvPKcS1_S1_S1_S1_PKiPfP15HIP_vector_typeIfLj2EEffffjfiS5_IjLj3EEiiiiiiiiiiiliiliiiiil, .Lfunc_end0-_ZL15flash_attn_tileILi192ELi128ELi2ELi16ELb0EEvPKcS1_S1_S1_S1_PKiPfP15HIP_vector_typeIfLj2EEffffjfiS5_IjLj3EEiiiiiiiiiiiliiliiiiil
                                        ; -- End function
	.section	.AMDGPU.csdata,"",@progbits
; Kernel info:
; codeLenInByte = 29532
; NumSgprs: 55
; NumVgprs: 138
; ScratchSize: 0
; MemoryBound: 0
; FloatMode: 240
; IeeeMode: 1
; LDSByteSize: 25600 bytes/workgroup (compile time only)
; SGPRBlocks: 6
; VGPRBlocks: 17
; NumSGPRsForWavesPerEU: 55
; NumVGPRsForWavesPerEU: 138
; Occupancy: 10
; WaveLimiterHint : 1
; COMPUTE_PGM_RSRC2:SCRATCH_EN: 0
; COMPUTE_PGM_RSRC2:USER_SGPR: 13
; COMPUTE_PGM_RSRC2:TRAP_HANDLER: 0
; COMPUTE_PGM_RSRC2:TGID_X_EN: 1
; COMPUTE_PGM_RSRC2:TGID_Y_EN: 1
; COMPUTE_PGM_RSRC2:TGID_Z_EN: 1
; COMPUTE_PGM_RSRC2:TIDIG_COMP_CNT: 1
	.section	.text._ZL25flash_attn_mask_to_KV_maxILi2EEvPK7__half2Piiii,"axG",@progbits,_ZL25flash_attn_mask_to_KV_maxILi2EEvPK7__half2Piiii,comdat
	.globl	_ZL25flash_attn_mask_to_KV_maxILi2EEvPK7__half2Piiii ; -- Begin function _ZL25flash_attn_mask_to_KV_maxILi2EEvPK7__half2Piiii
	.p2align	8
	.type	_ZL25flash_attn_mask_to_KV_maxILi2EEvPK7__half2Piiii,@function
_ZL25flash_attn_mask_to_KV_maxILi2EEvPK7__half2Piiii: ; @_ZL25flash_attn_mask_to_KV_maxILi2EEvPK7__half2Piiii
; %bb.0:
	s_load_b128 s[4:7], s[0:1], 0x0
	s_mov_b32 s2, exec_lo
	v_cmpx_gt_u32_e32 32, v0
	s_cbranch_execz .LBB1_2
; %bb.1:
	v_dual_mov_b32 v2, 1 :: v_dual_lshlrev_b32 v1, 2, v0
	ds_store_b32 v1, v2
.LBB1_2:
	s_or_b32 exec_lo, exec_lo, s2
	s_clause 0x1
	s_load_b128 s[8:11], s[0:1], 0x10
	s_load_b32 s1, s[0:1], 0x20
	v_dual_mov_b32 v2, 0 :: v_dual_and_b32 v1, 31, v0
	v_lshrrev_b32_e32 v3, 3, v0
	s_waitcnt lgkmcnt(0)
	s_barrier
	s_delay_alu instid0(VALU_DEP_2) | instskip(SKIP_4) | instid1(SALU_CYCLE_1)
	v_lshlrev_b32_e32 v4, 2, v1
	buffer_gl0_inv
	s_mul_i32 s0, s14, s9
	s_mul_i32 s2, s15, s10
	s_lshl_b32 s0, s0, 1
	s_add_i32 s2, s2, s0
	v_cmp_eq_u32_e64 s0, 0, v1
	s_ashr_i32 s3, s2, 31
	s_delay_alu instid0(SALU_CYCLE_1) | instskip(NEXT) | instid1(SALU_CYCLE_1)
	s_lshl_b64 s[10:11], s[2:3], 2
	s_add_u32 s3, s4, s10
	s_addc_u32 s4, s5, s11
	s_lshl_b32 s5, s8, 8
	s_branch .LBB1_4
.LBB1_3:                                ;   in Loop: Header=BB1_4 Depth=1
	s_or_b32 exec_lo, exec_lo, s10
	s_waitcnt lgkmcnt(0)
	s_barrier
	buffer_gl0_inv
	ds_load_b32 v1, v4
	s_waitcnt lgkmcnt(0)
	s_barrier
	buffer_gl0_inv
	;;#ASMSTART
	;;#ASMEND
	v_cmp_ne_u32_e32 vcc_lo, 0, v1
	s_cmp_lg_u32 vcc_lo, exec_lo
	s_cselect_b32 s8, -1, 0
	s_delay_alu instid0(SALU_CYCLE_1)
	s_and_b32 vcc_lo, exec_lo, s8
	s_cbranch_vccnz .LBB1_12
.LBB1_4:                                ; =>This Inner Loop Header: Depth=1
	s_mov_b32 s2, s5
	s_addk_i32 s5, 0xff00
	s_delay_alu instid0(SALU_CYCLE_1)
	s_cmp_lt_i32 s5, 0
	s_cbranch_scc1 .LBB1_11
; %bb.5:                                ;   in Loop: Header=BB1_4 Depth=1
	s_lshr_b32 s8, s5, 1
	s_mov_b32 s10, 0
	v_add_nc_u32_e32 v1, s8, v0
	s_delay_alu instid0(VALU_DEP_1) | instskip(NEXT) | instid1(VALU_DEP_1)
	v_lshlrev_b64 v[5:6], 2, v[1:2]
	v_add_co_u32 v5, vcc_lo, s3, v5
	s_delay_alu instid0(VALU_DEP_2) | instskip(SKIP_4) | instid1(VALU_DEP_2)
	v_add_co_ci_u32_e32 v6, vcc_lo, s4, v6, vcc_lo
	global_load_b32 v5, v[5:6], off
	s_waitcnt vmcnt(0)
	v_lshrrev_b32_e32 v6, 16, v5
	v_cmp_class_f16_e64 s8, v5, 0x204
	v_and_b32_e32 v6, 0x7fff, v6
	s_delay_alu instid0(VALU_DEP_1) | instskip(NEXT) | instid1(VALU_DEP_3)
	v_cmp_eq_f16_e32 vcc_lo, 0x7c00, v6
	s_and_b32 s11, s8, vcc_lo
	s_delay_alu instid0(SALU_CYCLE_1)
	s_and_saveexec_b32 s8, s11
	s_cbranch_execz .LBB1_9
; %bb.6:                                ;   in Loop: Header=BB1_4 Depth=1
	v_add_nc_u32_e32 v5, s9, v1
	s_delay_alu instid0(VALU_DEP_1) | instskip(NEXT) | instid1(VALU_DEP_1)
	v_ashrrev_i32_e32 v6, 31, v5
	v_lshlrev_b64 v[5:6], 2, v[5:6]
	s_delay_alu instid0(VALU_DEP_1) | instskip(NEXT) | instid1(VALU_DEP_2)
	v_add_co_u32 v5, vcc_lo, s3, v5
	v_add_co_ci_u32_e32 v6, vcc_lo, s4, v6, vcc_lo
	global_load_b32 v1, v[5:6], off
	s_waitcnt vmcnt(0)
	v_cmp_class_f16_e64 s12, v1, 0x204
	s_delay_alu instid0(VALU_DEP_1)
	s_and_saveexec_b32 s11, s12
; %bb.7:                                ;   in Loop: Header=BB1_4 Depth=1
	v_lshrrev_b32_e32 v1, 16, v1
	s_delay_alu instid0(VALU_DEP_1) | instskip(NEXT) | instid1(VALU_DEP_1)
	v_cmp_class_f16_e64 s10, v1, 0x204
	s_and_b32 s10, s10, exec_lo
; %bb.8:                                ;   in Loop: Header=BB1_4 Depth=1
	s_or_b32 exec_lo, exec_lo, s11
	s_delay_alu instid0(SALU_CYCLE_1)
	s_and_b32 s10, s10, exec_lo
.LBB1_9:                                ;   in Loop: Header=BB1_4 Depth=1
	s_or_b32 exec_lo, exec_lo, s8
	v_cndmask_b32_e64 v1, 0, 1, s10
	;;#ASMSTART
	;;#ASMEND
	s_delay_alu instid0(VALU_DEP_1)
	v_cmp_ne_u32_e32 vcc_lo, 0, v1
	s_mov_b32 s8, exec_lo
	s_and_saveexec_b32 s10, s0
	s_cbranch_execz .LBB1_3
; %bb.10:                               ;   in Loop: Header=BB1_4 Depth=1
	s_cmp_eq_u32 vcc_lo, s8
	s_cselect_b32 s8, -1, 0
	s_delay_alu instid0(SALU_CYCLE_1)
	v_cndmask_b32_e64 v1, 0, 1, s8
	ds_store_b32 v3, v1
	s_branch .LBB1_3
.LBB1_11:                               ;   in Loop: Header=BB1_4 Depth=1
                                        ; implicit-def: $sgpr5
	s_cbranch_execz .LBB1_4
.LBB1_12:
	s_mov_b32 s0, exec_lo
	v_cmpx_eq_u32_e32 0, v0
	s_cbranch_execz .LBB1_14
; %bb.13:
	s_mul_i32 s0, s1, s15
	v_dual_mov_b32 v0, 0 :: v_dual_mov_b32 v1, s2
	s_add_i32 s0, s0, s14
	s_delay_alu instid0(SALU_CYCLE_1) | instskip(NEXT) | instid1(SALU_CYCLE_1)
	s_ashr_i32 s1, s0, 31
	s_lshl_b64 s[0:1], s[0:1], 2
	s_delay_alu instid0(SALU_CYCLE_1)
	s_add_u32 s0, s6, s0
	s_addc_u32 s1, s7, s1
	global_store_b32 v0, v1, s[0:1]
.LBB1_14:
	s_nop 0
	s_sendmsg sendmsg(MSG_DEALLOC_VGPRS)
	s_endpgm
	.section	.rodata,"a",@progbits
	.p2align	6, 0x0
	.amdhsa_kernel _ZL25flash_attn_mask_to_KV_maxILi2EEvPK7__half2Piiii
		.amdhsa_group_segment_fixed_size 128
		.amdhsa_private_segment_fixed_size 0
		.amdhsa_kernarg_size 288
		.amdhsa_user_sgpr_count 14
		.amdhsa_user_sgpr_dispatch_ptr 0
		.amdhsa_user_sgpr_queue_ptr 0
		.amdhsa_user_sgpr_kernarg_segment_ptr 1
		.amdhsa_user_sgpr_dispatch_id 0
		.amdhsa_user_sgpr_private_segment_size 0
		.amdhsa_wavefront_size32 1
		.amdhsa_uses_dynamic_stack 0
		.amdhsa_enable_private_segment 0
		.amdhsa_system_sgpr_workgroup_id_x 1
		.amdhsa_system_sgpr_workgroup_id_y 1
		.amdhsa_system_sgpr_workgroup_id_z 0
		.amdhsa_system_sgpr_workgroup_info 0
		.amdhsa_system_vgpr_workitem_id 0
		.amdhsa_next_free_vgpr 7
		.amdhsa_next_free_sgpr 16
		.amdhsa_reserve_vcc 1
		.amdhsa_float_round_mode_32 0
		.amdhsa_float_round_mode_16_64 0
		.amdhsa_float_denorm_mode_32 3
		.amdhsa_float_denorm_mode_16_64 3
		.amdhsa_dx10_clamp 1
		.amdhsa_ieee_mode 1
		.amdhsa_fp16_overflow 0
		.amdhsa_workgroup_processor_mode 1
		.amdhsa_memory_ordered 1
		.amdhsa_forward_progress 0
		.amdhsa_shared_vgpr_count 0
		.amdhsa_exception_fp_ieee_invalid_op 0
		.amdhsa_exception_fp_denorm_src 0
		.amdhsa_exception_fp_ieee_div_zero 0
		.amdhsa_exception_fp_ieee_overflow 0
		.amdhsa_exception_fp_ieee_underflow 0
		.amdhsa_exception_fp_ieee_inexact 0
		.amdhsa_exception_int_div_zero 0
	.end_amdhsa_kernel
	.section	.text._ZL25flash_attn_mask_to_KV_maxILi2EEvPK7__half2Piiii,"axG",@progbits,_ZL25flash_attn_mask_to_KV_maxILi2EEvPK7__half2Piiii,comdat
.Lfunc_end1:
	.size	_ZL25flash_attn_mask_to_KV_maxILi2EEvPK7__half2Piiii, .Lfunc_end1-_ZL25flash_attn_mask_to_KV_maxILi2EEvPK7__half2Piiii
                                        ; -- End function
	.section	.AMDGPU.csdata,"",@progbits
; Kernel info:
; codeLenInByte = 584
; NumSgprs: 18
; NumVgprs: 7
; ScratchSize: 0
; MemoryBound: 0
; FloatMode: 240
; IeeeMode: 1
; LDSByteSize: 128 bytes/workgroup (compile time only)
; SGPRBlocks: 2
; VGPRBlocks: 0
; NumSGPRsForWavesPerEU: 18
; NumVGPRsForWavesPerEU: 7
; Occupancy: 16
; WaveLimiterHint : 0
; COMPUTE_PGM_RSRC2:SCRATCH_EN: 0
; COMPUTE_PGM_RSRC2:USER_SGPR: 14
; COMPUTE_PGM_RSRC2:TRAP_HANDLER: 0
; COMPUTE_PGM_RSRC2:TGID_X_EN: 1
; COMPUTE_PGM_RSRC2:TGID_Y_EN: 1
; COMPUTE_PGM_RSRC2:TGID_Z_EN: 0
; COMPUTE_PGM_RSRC2:TIDIG_COMP_CNT: 0
	.section	.text._ZL33flash_attn_stream_k_fixup_uniformILi128ELi2ELi16EEvPfPK15HIP_vector_typeIfLj2EEiiiiiiS1_IjLj3EES5_S5_,"axG",@progbits,_ZL33flash_attn_stream_k_fixup_uniformILi128ELi2ELi16EEvPfPK15HIP_vector_typeIfLj2EEiiiiiiS1_IjLj3EES5_S5_,comdat
	.globl	_ZL33flash_attn_stream_k_fixup_uniformILi128ELi2ELi16EEvPfPK15HIP_vector_typeIfLj2EEiiiiiiS1_IjLj3EES5_S5_ ; -- Begin function _ZL33flash_attn_stream_k_fixup_uniformILi128ELi2ELi16EEvPfPK15HIP_vector_typeIfLj2EEiiiiiiS1_IjLj3EES5_S5_
	.p2align	8
	.type	_ZL33flash_attn_stream_k_fixup_uniformILi128ELi2ELi16EEvPfPK15HIP_vector_typeIfLj2EEiiiiiiS1_IjLj3EES5_S5_,@function
_ZL33flash_attn_stream_k_fixup_uniformILi128ELi2ELi16EEvPfPK15HIP_vector_typeIfLj2EEiiiiiiS1_IjLj3EES5_S5_: ; @_ZL33flash_attn_stream_k_fixup_uniformILi128ELi2ELi16EEvPfPK15HIP_vector_typeIfLj2EEiiiiiiS1_IjLj3EES5_S5_
; %bb.0:
	s_clause 0x1
	s_load_b256 s[4:11], s[0:1], 0x1c
	s_load_b128 s[16:19], s[0:1], 0x3c
	s_waitcnt lgkmcnt(0)
	s_mul_hi_u32 s2, s7, s13
	s_delay_alu instid0(SALU_CYCLE_1) | instskip(NEXT) | instid1(SALU_CYCLE_1)
	s_add_i32 s2, s13, s2
	s_lshr_b32 s2, s2, s8
	s_delay_alu instid0(SALU_CYCLE_1) | instskip(SKIP_2) | instid1(SALU_CYCLE_1)
	s_mul_i32 s3, s2, s9
	s_load_b64 s[8:9], s[0:1], 0x10
	s_sub_i32 s7, s13, s3
	s_mul_hi_u32 s3, s7, s10
	s_delay_alu instid0(SALU_CYCLE_1) | instskip(NEXT) | instid1(SALU_CYCLE_1)
	s_add_i32 s3, s7, s3
	s_lshr_b32 s3, s3, s11
	s_delay_alu instid0(SALU_CYCLE_1) | instskip(NEXT) | instid1(SALU_CYCLE_1)
	s_mul_i32 s10, s3, s16
	s_sub_i32 s7, s7, s10
	s_delay_alu instid0(SALU_CYCLE_1) | instskip(NEXT) | instid1(SALU_CYCLE_1)
	s_mul_hi_u32 s10, s7, s17
	s_add_i32 s10, s7, s10
	s_delay_alu instid0(SALU_CYCLE_1) | instskip(NEXT) | instid1(SALU_CYCLE_1)
	s_lshr_b32 s10, s10, s18
	s_mul_i32 s11, s10, s19
	s_lshl_b32 s10, s10, 4
	s_sub_i32 s7, s7, s11
	s_delay_alu instid0(SALU_CYCLE_1) | instskip(NEXT) | instid1(SALU_CYCLE_1)
	s_lshl_b32 s11, s7, 1
	s_add_i32 s11, s11, s14
	s_waitcnt lgkmcnt(0)
	s_cmp_lt_i32 s11, s8
	s_cselect_b32 s11, -1, 0
	s_add_i32 s12, s10, s15
	s_delay_alu instid0(SALU_CYCLE_1) | instskip(SKIP_1) | instid1(SALU_CYCLE_1)
	s_cmp_lt_i32 s12, s5
	s_cselect_b32 s12, -1, 0
	s_and_b32 s11, s11, s12
	s_delay_alu instid0(SALU_CYCLE_1)
	s_and_not1_b32 vcc_lo, exec_lo, s11
	s_cbranch_vccnz .LBB2_6
; %bb.1:
	s_mul_i32 s2, s2, s8
	s_mul_i32 s5, s3, s5
	s_add_i32 s2, s2, s14
	s_mul_i32 s7, s9, s7
	s_mul_i32 s2, s2, s9
	s_lshl_b32 s7, s7, 8
	s_add_i32 s8, s2, s15
	s_load_b128 s[0:3], s[0:1], 0x0
	s_add_i32 s5, s8, s5
	s_lshl_b32 s9, s14, 4
	s_add_i32 s5, s5, s10
	s_delay_alu instid0(SALU_CYCLE_1) | instskip(NEXT) | instid1(SALU_CYCLE_1)
	s_lshl_b32 s5, s5, 7
	s_add_i32 s7, s7, s5
	s_mul_i32 s5, s13, s6
	v_or_b32_e32 v1, s7, v0
	s_add_i32 s10, s5, s6
	s_delay_alu instid0(VALU_DEP_1) | instskip(NEXT) | instid1(VALU_DEP_1)
	v_ashrrev_i32_e32 v2, 31, v1
	v_lshlrev_b64 v[1:2], 2, v[1:2]
	s_waitcnt lgkmcnt(0)
	s_delay_alu instid0(VALU_DEP_1) | instskip(NEXT) | instid1(VALU_DEP_2)
	v_add_co_u32 v1, vcc_lo, s0, v1
	v_add_co_ci_u32_e32 v2, vcc_lo, s1, v2, vcc_lo
	s_add_i32 s0, s9, s15
	s_lshl_b32 s1, s10, 5
	s_delay_alu instid0(SALU_CYCLE_1) | instskip(SKIP_2) | instid1(SALU_CYCLE_1)
	s_add_i32 s0, s0, s1
	global_load_b32 v5, v[1:2], off
	s_sub_i32 s0, s0, 32
	s_ashr_i32 s1, s0, 31
	s_delay_alu instid0(SALU_CYCLE_1) | instskip(NEXT) | instid1(SALU_CYCLE_1)
	s_lshl_b64 s[0:1], s[0:1], 3
	s_add_u32 s0, s2, s0
	s_addc_u32 s1, s3, s1
	s_add_i32 s7, s10, -2
	s_load_b32 s11, s[0:1], 0x4
	s_cmp_lt_i32 s7, s5
	s_cbranch_scc1 .LBB2_4
; %bb.2:
	s_lshl_b32 s16, s4, 7
	s_load_b32 s12, s[0:1], 0x0
	s_ashr_i32 s17, s16, 31
	s_delay_alu instid0(SALU_CYCLE_1) | instskip(NEXT) | instid1(SALU_CYCLE_1)
	s_lshl_b64 s[0:1], s[16:17], 2
	s_add_u32 s7, s2, s0
	s_addc_u32 s8, s3, s1
	s_add_i32 s13, s13, 1
	s_lshl_b32 s0, s14, 11
	s_lshl_b32 s1, s15, 7
	s_mul_i32 s6, s6, s13
	s_add_i32 s0, s1, s0
	s_lshl_b32 s1, s6, 12
	s_delay_alu instid0(SALU_CYCLE_1)
	s_add_i32 s0, s0, s1
	s_lshl_b32 s1, s6, 5
	v_or_b32_e32 v0, s0, v0
	s_lshl_b32 s0, s4, 5
	s_add_i32 s1, s15, s1
	s_waitcnt lgkmcnt(0)
	v_mov_b32_e32 v6, s11
	s_add_i32 s0, s1, s0
	v_dual_mov_b32 v0, s12 :: v_dual_add_nc_u32 v3, 0xffffe000, v0
	s_add_i32 s0, s0, s9
	s_add_i32 s4, s10, -1
	s_sub_i32 s0, s0, 64
.LBB2_3:                                ; =>This Inner Loop Header: Depth=1
	s_delay_alu instid0(VALU_DEP_1) | instskip(SKIP_1) | instid1(SALU_CYCLE_1)
	v_ashrrev_i32_e32 v4, 31, v3
	s_ashr_i32 s1, s0, 31
	s_lshl_b64 s[10:11], s[0:1], 3
	s_delay_alu instid0(SALU_CYCLE_1) | instskip(NEXT) | instid1(VALU_DEP_1)
	s_add_u32 s10, s2, s10
	v_lshlrev_b64 v[7:8], 2, v[3:4]
	s_addc_u32 s11, s3, s11
	s_add_i32 s4, s4, -1
	s_sub_i32 s0, s0, 32
	s_cmp_le_i32 s4, s5
	s_load_b64 s[10:11], s[10:11], 0x0
	v_add_co_u32 v7, vcc_lo, s7, v7
	v_add_co_ci_u32_e32 v8, vcc_lo, s8, v8, vcc_lo
	global_load_b32 v4, v[7:8], off
	v_max_f32_e32 v7, v0, v0
	s_waitcnt lgkmcnt(0)
	v_max_f32_e64 v8, s10, s10
	s_delay_alu instid0(VALU_DEP_1) | instskip(NEXT) | instid1(VALU_DEP_1)
	v_max_f32_e32 v7, v7, v8
	v_sub_f32_e32 v8, s10, v7
	s_delay_alu instid0(VALU_DEP_1) | instskip(NEXT) | instid1(VALU_DEP_1)
	v_dual_sub_f32 v0, v0, v7 :: v_dual_mul_f32 v9, 0x3fb8aa3b, v8
	v_fma_f32 v10, 0x3fb8aa3b, v8, -v9
	v_rndne_f32_e32 v11, v9
	s_delay_alu instid0(VALU_DEP_3) | instskip(NEXT) | instid1(VALU_DEP_2)
	v_mul_f32_e32 v12, 0x3fb8aa3b, v0
	v_dual_fmac_f32 v10, 0x32a5705f, v8 :: v_dual_sub_f32 v9, v9, v11
	v_cvt_i32_f32_e32 v11, v11
	s_delay_alu instid0(VALU_DEP_3) | instskip(SKIP_1) | instid1(VALU_DEP_4)
	v_fma_f32 v13, 0x3fb8aa3b, v0, -v12
	v_rndne_f32_e32 v14, v12
	v_add_f32_e32 v9, v9, v10
	v_cmp_ngt_f32_e32 vcc_lo, 0xc2ce8ed0, v8
	s_delay_alu instid0(VALU_DEP_3) | instskip(NEXT) | instid1(VALU_DEP_3)
	v_sub_f32_e32 v10, v12, v14
	v_exp_f32_e32 v9, v9
	s_waitcnt_depctr 0xfff
	v_ldexp_f32 v9, v9, v11
	v_cvt_i32_f32_e32 v11, v14
	s_delay_alu instid0(VALU_DEP_2) | instskip(SKIP_1) | instid1(VALU_DEP_2)
	v_cndmask_b32_e32 v9, 0, v9, vcc_lo
	v_cmp_nlt_f32_e32 vcc_lo, 0x42b17218, v8
	v_cndmask_b32_e32 v9, 0x7f800000, v9, vcc_lo
	v_cmp_ngt_f32_e32 vcc_lo, 0xc2ce8ed0, v0
	v_fmac_f32_e32 v13, 0x32a5705f, v0
	s_delay_alu instid0(VALU_DEP_1) | instskip(NEXT) | instid1(VALU_DEP_1)
	v_add_f32_e32 v10, v10, v13
	v_exp_f32_e32 v10, v10
	s_waitcnt_depctr 0xfff
	v_ldexp_f32 v10, v10, v11
	s_delay_alu instid0(VALU_DEP_1)
	v_dual_mov_b32 v11, v6 :: v_dual_cndmask_b32 v10, 0, v10
	v_cmp_le_f32_e32 vcc_lo, 0xc1a00000, v8
	s_waitcnt vmcnt(1)
	v_dual_cndmask_b32 v8, 0, v9 :: v_dual_mov_b32 v9, v5
	v_cmp_nlt_f32_e32 vcc_lo, 0x42b17218, v0
	v_cndmask_b32_e32 v5, 0x7f800000, v10, vcc_lo
	s_delay_alu instid0(VALU_DEP_3) | instskip(SKIP_2) | instid1(VALU_DEP_3)
	v_mul_f32_e32 v10, s11, v8
	v_cmp_le_f32_e32 vcc_lo, 0xc1a00000, v0
	v_mov_b32_e32 v0, v7
	v_mov_b32_e32 v6, v10
	s_waitcnt vmcnt(0)
	v_dual_cndmask_b32 v12, 0, v5 :: v_dual_mul_f32 v5, v4, v8
	s_delay_alu instid0(VALU_DEP_1) | instskip(NEXT) | instid1(VALU_DEP_2)
	v_dual_fmac_f32 v6, v11, v12 :: v_dual_add_nc_u32 v3, 0xfffff000, v3
	v_fmac_f32_e32 v5, v9, v12
	s_cbranch_scc0 .LBB2_3
	s_branch .LBB2_5
.LBB2_4:
	s_waitcnt lgkmcnt(0)
	v_mov_b32_e32 v6, s11
.LBB2_5:
	s_waitcnt vmcnt(0)
	s_delay_alu instid0(VALU_DEP_1) | instskip(NEXT) | instid1(VALU_DEP_1)
	v_div_scale_f32 v0, null, v6, v6, v5
	v_rcp_f32_e32 v3, v0
	s_waitcnt_depctr 0xfff
	v_fma_f32 v4, -v0, v3, 1.0
	s_delay_alu instid0(VALU_DEP_1) | instskip(SKIP_1) | instid1(VALU_DEP_1)
	v_fmac_f32_e32 v3, v4, v3
	v_div_scale_f32 v4, vcc_lo, v5, v6, v5
	v_mul_f32_e32 v7, v4, v3
	s_delay_alu instid0(VALU_DEP_1) | instskip(NEXT) | instid1(VALU_DEP_1)
	v_fma_f32 v8, -v0, v7, v4
	v_fmac_f32_e32 v7, v8, v3
	s_delay_alu instid0(VALU_DEP_1) | instskip(NEXT) | instid1(VALU_DEP_1)
	v_fma_f32 v0, -v0, v7, v4
	v_div_fmas_f32 v0, v0, v3, v7
	s_delay_alu instid0(VALU_DEP_1)
	v_div_fixup_f32 v0, v0, v6, v5
	global_store_b32 v[1:2], v0, off
.LBB2_6:
	s_nop 0
	s_sendmsg sendmsg(MSG_DEALLOC_VGPRS)
	s_endpgm
	.section	.rodata,"a",@progbits
	.p2align	6, 0x0
	.amdhsa_kernel _ZL33flash_attn_stream_k_fixup_uniformILi128ELi2ELi16EEvPfPK15HIP_vector_typeIfLj2EEiiiiiiS1_IjLj3EES5_S5_
		.amdhsa_group_segment_fixed_size 0
		.amdhsa_private_segment_fixed_size 0
		.amdhsa_kernarg_size 76
		.amdhsa_user_sgpr_count 13
		.amdhsa_user_sgpr_dispatch_ptr 0
		.amdhsa_user_sgpr_queue_ptr 0
		.amdhsa_user_sgpr_kernarg_segment_ptr 1
		.amdhsa_user_sgpr_dispatch_id 0
		.amdhsa_user_sgpr_private_segment_size 0
		.amdhsa_wavefront_size32 1
		.amdhsa_uses_dynamic_stack 0
		.amdhsa_enable_private_segment 0
		.amdhsa_system_sgpr_workgroup_id_x 1
		.amdhsa_system_sgpr_workgroup_id_y 1
		.amdhsa_system_sgpr_workgroup_id_z 1
		.amdhsa_system_sgpr_workgroup_info 0
		.amdhsa_system_vgpr_workitem_id 0
		.amdhsa_next_free_vgpr 15
		.amdhsa_next_free_sgpr 20
		.amdhsa_reserve_vcc 1
		.amdhsa_float_round_mode_32 0
		.amdhsa_float_round_mode_16_64 0
		.amdhsa_float_denorm_mode_32 3
		.amdhsa_float_denorm_mode_16_64 3
		.amdhsa_dx10_clamp 1
		.amdhsa_ieee_mode 1
		.amdhsa_fp16_overflow 0
		.amdhsa_workgroup_processor_mode 1
		.amdhsa_memory_ordered 1
		.amdhsa_forward_progress 0
		.amdhsa_shared_vgpr_count 0
		.amdhsa_exception_fp_ieee_invalid_op 0
		.amdhsa_exception_fp_denorm_src 0
		.amdhsa_exception_fp_ieee_div_zero 0
		.amdhsa_exception_fp_ieee_overflow 0
		.amdhsa_exception_fp_ieee_underflow 0
		.amdhsa_exception_fp_ieee_inexact 0
		.amdhsa_exception_int_div_zero 0
	.end_amdhsa_kernel
	.section	.text._ZL33flash_attn_stream_k_fixup_uniformILi128ELi2ELi16EEvPfPK15HIP_vector_typeIfLj2EEiiiiiiS1_IjLj3EES5_S5_,"axG",@progbits,_ZL33flash_attn_stream_k_fixup_uniformILi128ELi2ELi16EEvPfPK15HIP_vector_typeIfLj2EEiiiiiiS1_IjLj3EES5_S5_,comdat
.Lfunc_end2:
	.size	_ZL33flash_attn_stream_k_fixup_uniformILi128ELi2ELi16EEvPfPK15HIP_vector_typeIfLj2EEiiiiiiS1_IjLj3EES5_S5_, .Lfunc_end2-_ZL33flash_attn_stream_k_fixup_uniformILi128ELi2ELi16EEvPfPK15HIP_vector_typeIfLj2EEiiiiiiS1_IjLj3EES5_S5_
                                        ; -- End function
	.section	.AMDGPU.csdata,"",@progbits
; Kernel info:
; codeLenInByte = 996
; NumSgprs: 22
; NumVgprs: 15
; ScratchSize: 0
; MemoryBound: 0
; FloatMode: 240
; IeeeMode: 1
; LDSByteSize: 0 bytes/workgroup (compile time only)
; SGPRBlocks: 2
; VGPRBlocks: 1
; NumSGPRsForWavesPerEU: 22
; NumVGPRsForWavesPerEU: 15
; Occupancy: 16
; WaveLimiterHint : 0
; COMPUTE_PGM_RSRC2:SCRATCH_EN: 0
; COMPUTE_PGM_RSRC2:USER_SGPR: 13
; COMPUTE_PGM_RSRC2:TRAP_HANDLER: 0
; COMPUTE_PGM_RSRC2:TGID_X_EN: 1
; COMPUTE_PGM_RSRC2:TGID_Y_EN: 1
; COMPUTE_PGM_RSRC2:TGID_Z_EN: 1
; COMPUTE_PGM_RSRC2:TIDIG_COMP_CNT: 0
	.section	.text._ZL33flash_attn_stream_k_fixup_generalILi128ELi2ELi16EEvPfPK15HIP_vector_typeIfLj2EEiiiiS1_IjLj3EES5_S5_S5_,"axG",@progbits,_ZL33flash_attn_stream_k_fixup_generalILi128ELi2ELi16EEvPfPK15HIP_vector_typeIfLj2EEiiiiS1_IjLj3EES5_S5_S5_,comdat
	.globl	_ZL33flash_attn_stream_k_fixup_generalILi128ELi2ELi16EEvPfPK15HIP_vector_typeIfLj2EEiiiiS1_IjLj3EES5_S5_S5_ ; -- Begin function _ZL33flash_attn_stream_k_fixup_generalILi128ELi2ELi16EEvPfPK15HIP_vector_typeIfLj2EEiiiiS1_IjLj3EES5_S5_S5_
	.p2align	8
	.type	_ZL33flash_attn_stream_k_fixup_generalILi128ELi2ELi16EEvPfPK15HIP_vector_typeIfLj2EEiiiiS1_IjLj3EES5_S5_S5_,@function
_ZL33flash_attn_stream_k_fixup_generalILi128ELi2ELi16EEvPfPK15HIP_vector_typeIfLj2EEiiiiS1_IjLj3EES5_S5_S5_: ; @_ZL33flash_attn_stream_k_fixup_generalILi128ELi2ELi16EEvPfPK15HIP_vector_typeIfLj2EEiiiiS1_IjLj3EES5_S5_S5_
; %bb.0:
	s_clause 0x1
	s_load_b128 s[4:7], s[0:1], 0x10
	s_load_b32 s20, s[0:1], 0x50
	s_mov_b32 s2, 0
	s_waitcnt lgkmcnt(0)
	s_mul_hi_i32 s3, s7, s13
	s_mul_i32 s12, s7, s13
	s_cmp_lg_u64 s[2:3], 0
	s_cbranch_scc0 .LBB3_21
; %bb.1:
	v_cvt_f32_ubyte0_e32 v1, 0
	v_cvt_f32_u32_e32 v2, s20
	s_sub_u32 s10, 0, s20
	s_subb_u32 s11, 0, 0
	s_delay_alu instid0(VALU_DEP_1) | instskip(NEXT) | instid1(VALU_DEP_1)
	v_fmamk_f32 v1, v1, 0x4f800000, v2
	v_rcp_f32_e32 v1, v1
	s_waitcnt_depctr 0xfff
	v_mul_f32_e32 v1, 0x5f7ffffc, v1
	s_delay_alu instid0(VALU_DEP_1) | instskip(NEXT) | instid1(VALU_DEP_1)
	v_mul_f32_e32 v2, 0x2f800000, v1
	v_trunc_f32_e32 v2, v2
	s_delay_alu instid0(VALU_DEP_1) | instskip(SKIP_1) | instid1(VALU_DEP_2)
	v_fmamk_f32 v1, v2, 0xcf800000, v1
	v_cvt_u32_f32_e32 v2, v2
	v_cvt_u32_f32_e32 v1, v1
	s_delay_alu instid0(VALU_DEP_2) | instskip(NEXT) | instid1(VALU_DEP_2)
	v_readfirstlane_b32 s8, v2
	v_readfirstlane_b32 s9, v1
	s_delay_alu instid0(VALU_DEP_2) | instskip(NEXT) | instid1(VALU_DEP_1)
	s_mul_i32 s16, s10, s8
	s_mul_hi_u32 s18, s10, s9
	s_mul_i32 s17, s11, s9
	s_add_i32 s16, s18, s16
	s_mul_i32 s19, s10, s9
	s_add_i32 s16, s16, s17
	s_mul_hi_u32 s18, s9, s19
	s_mul_hi_u32 s21, s8, s19
	s_mul_i32 s17, s8, s19
	s_mul_hi_u32 s19, s9, s16
	s_mul_i32 s9, s9, s16
	s_mul_hi_u32 s22, s8, s16
	s_add_u32 s9, s18, s9
	s_addc_u32 s18, 0, s19
	s_add_u32 s9, s9, s17
	s_mul_i32 s16, s8, s16
	s_addc_u32 s9, s18, s21
	s_addc_u32 s17, s22, 0
	s_add_u32 s9, s9, s16
	s_addc_u32 s16, 0, s17
	v_add_co_u32 v1, s9, v1, s9
	s_delay_alu instid0(VALU_DEP_1) | instskip(SKIP_1) | instid1(VALU_DEP_1)
	s_cmp_lg_u32 s9, 0
	s_addc_u32 s8, s8, s16
	v_readfirstlane_b32 s9, v1
	s_mul_i32 s16, s10, s8
	s_delay_alu instid0(VALU_DEP_1)
	s_mul_hi_u32 s17, s10, s9
	s_mul_i32 s11, s11, s9
	s_add_i32 s16, s17, s16
	s_mul_i32 s10, s10, s9
	s_add_i32 s16, s16, s11
	s_mul_hi_u32 s17, s8, s10
	s_mul_i32 s18, s8, s10
	s_mul_hi_u32 s10, s9, s10
	s_mul_hi_u32 s19, s9, s16
	s_mul_i32 s9, s9, s16
	s_mul_hi_u32 s11, s8, s16
	s_add_u32 s9, s10, s9
	s_addc_u32 s10, 0, s19
	s_add_u32 s9, s9, s18
	s_mul_i32 s16, s8, s16
	s_addc_u32 s9, s10, s17
	s_addc_u32 s10, s11, 0
	s_add_u32 s9, s9, s16
	s_addc_u32 s10, 0, s10
	v_add_co_u32 v1, s9, v1, s9
	s_delay_alu instid0(VALU_DEP_1) | instskip(SKIP_2) | instid1(SALU_CYCLE_1)
	s_cmp_lg_u32 s9, 0
	s_addc_u32 s16, s8, s10
	s_ashr_i32 s8, s3, 31
	s_add_u32 s10, s12, s8
	s_addc_u32 s11, s3, s8
	v_readfirstlane_b32 s3, v1
	s_mov_b32 s9, s8
	s_delay_alu instid0(SALU_CYCLE_1) | instskip(NEXT) | instid1(SALU_CYCLE_1)
	s_xor_b64 s[10:11], s[10:11], s[8:9]
	s_mul_i32 s18, s10, s16
	s_delay_alu instid0(VALU_DEP_1)
	s_mul_hi_u32 s19, s10, s3
	s_mul_hi_u32 s17, s10, s16
	;; [unrolled: 1-line block ×3, first 2 shown]
	s_mul_i32 s3, s11, s3
	s_add_u32 s18, s19, s18
	s_addc_u32 s17, 0, s17
	s_mul_hi_u32 s21, s11, s16
	s_add_u32 s3, s18, s3
	s_mul_i32 s16, s11, s16
	s_addc_u32 s3, s17, s22
	s_addc_u32 s17, s21, 0
	s_add_u32 s3, s3, s16
	s_addc_u32 s16, 0, s17
	s_mul_i32 s18, s20, s3
	s_add_u32 s17, s3, 1
	v_sub_co_u32 v1, s10, s10, s18
	s_mul_hi_u32 s18, s20, s3
	s_addc_u32 s19, s16, 0
	s_mul_i32 s21, s20, s16
	s_delay_alu instid0(VALU_DEP_1)
	v_sub_co_u32 v2, s22, v1, s20
	s_add_u32 s23, s3, 2
	s_addc_u32 s24, s16, 0
	s_add_i32 s18, s18, s21
	s_cmp_lg_u32 s10, 0
	v_readfirstlane_b32 s10, v2
	s_subb_u32 s11, s11, s18
	s_cmp_lg_u32 s22, 0
	s_subb_u32 s18, s11, 0
	s_delay_alu instid0(VALU_DEP_1) | instskip(SKIP_4) | instid1(SALU_CYCLE_1)
	s_cmp_ge_u32 s10, s20
	s_cselect_b32 s10, -1, 0
	s_cmp_eq_u32 s18, 0
	v_readfirstlane_b32 s18, v1
	s_cselect_b32 s10, s10, -1
	s_cmp_lg_u32 s10, 0
	s_cselect_b32 s10, s23, s17
	s_cselect_b32 s17, s24, s19
	s_cmp_ge_u32 s18, s20
	s_cselect_b32 s18, -1, 0
	s_cmp_eq_u32 s11, 0
	s_cselect_b32 s11, s18, -1
	s_delay_alu instid0(SALU_CYCLE_1) | instskip(SKIP_2) | instid1(SALU_CYCLE_1)
	s_cmp_lg_u32 s11, 0
	s_cselect_b32 s11, s17, s16
	s_cselect_b32 s10, s10, s3
	s_xor_b64 s[10:11], s[10:11], s[8:9]
	s_delay_alu instid0(SALU_CYCLE_1)
	s_sub_u32 s16, s10, s8
	s_load_b128 s[8:11], s[0:1], 0x44
	s_and_not1_b32 vcc_lo, exec_lo, s2
	s_cbranch_vccnz .LBB3_3
.LBB3_2:
	v_cvt_f32_u32_e32 v1, s20
	s_sub_i32 s3, 0, s20
	s_delay_alu instid0(VALU_DEP_1) | instskip(SKIP_2) | instid1(VALU_DEP_1)
	v_rcp_iflag_f32_e32 v1, v1
	s_waitcnt_depctr 0xfff
	v_mul_f32_e32 v1, 0x4f7ffffe, v1
	v_cvt_u32_f32_e32 v1, v1
	s_delay_alu instid0(VALU_DEP_1) | instskip(NEXT) | instid1(VALU_DEP_1)
	v_readfirstlane_b32 s2, v1
	s_mul_i32 s3, s3, s2
	s_delay_alu instid0(SALU_CYCLE_1) | instskip(NEXT) | instid1(SALU_CYCLE_1)
	s_mul_hi_u32 s3, s2, s3
	s_add_i32 s2, s2, s3
	s_delay_alu instid0(SALU_CYCLE_1) | instskip(NEXT) | instid1(SALU_CYCLE_1)
	s_mul_hi_u32 s2, s12, s2
	s_mul_i32 s3, s2, s20
	s_waitcnt lgkmcnt(0)
	s_add_i32 s11, s2, 1
	s_sub_i32 s3, s12, s3
	s_delay_alu instid0(SALU_CYCLE_1)
	s_sub_i32 s12, s3, s20
	s_cmp_ge_u32 s3, s20
	s_cselect_b32 s2, s11, s2
	s_cselect_b32 s3, s12, s3
	s_add_i32 s11, s2, 1
	s_cmp_ge_u32 s3, s20
	s_cselect_b32 s16, s11, s2
.LBB3_3:
	s_waitcnt lgkmcnt(0)
	s_add_i32 s11, s13, 1
	s_mov_b32 s2, 0
	s_mul_hi_i32 s3, s7, s11
	s_mul_i32 s11, s7, s11
	s_cmp_lg_u64 s[2:3], 0
	s_cbranch_scc0 .LBB3_22
; %bb.4:
	v_cvt_f32_ubyte0_e32 v1, 0
	v_cvt_f32_u32_e32 v2, s20
	s_sub_u32 s18, 0, s20
	s_subb_u32 s19, 0, 0
	s_delay_alu instid0(VALU_DEP_1) | instskip(NEXT) | instid1(VALU_DEP_1)
	v_fmamk_f32 v1, v1, 0x4f800000, v2
	v_rcp_f32_e32 v1, v1
	s_waitcnt_depctr 0xfff
	v_mul_f32_e32 v1, 0x5f7ffffc, v1
	s_delay_alu instid0(VALU_DEP_1) | instskip(NEXT) | instid1(VALU_DEP_1)
	v_mul_f32_e32 v2, 0x2f800000, v1
	v_trunc_f32_e32 v2, v2
	s_delay_alu instid0(VALU_DEP_1) | instskip(SKIP_1) | instid1(VALU_DEP_2)
	v_fmamk_f32 v1, v2, 0xcf800000, v1
	v_cvt_u32_f32_e32 v2, v2
	v_cvt_u32_f32_e32 v1, v1
	s_delay_alu instid0(VALU_DEP_2) | instskip(NEXT) | instid1(VALU_DEP_2)
	v_readfirstlane_b32 s12, v2
	v_readfirstlane_b32 s17, v1
	s_delay_alu instid0(VALU_DEP_2) | instskip(NEXT) | instid1(VALU_DEP_1)
	s_mul_i32 s21, s18, s12
	s_mul_hi_u32 s23, s18, s17
	s_mul_i32 s22, s19, s17
	s_add_i32 s21, s23, s21
	s_mul_i32 s24, s18, s17
	s_add_i32 s21, s21, s22
	s_mul_hi_u32 s23, s17, s24
	s_mul_hi_u32 s25, s12, s24
	s_mul_i32 s22, s12, s24
	s_mul_hi_u32 s24, s17, s21
	s_mul_i32 s17, s17, s21
	s_mul_hi_u32 s26, s12, s21
	s_add_u32 s17, s23, s17
	s_addc_u32 s23, 0, s24
	s_add_u32 s17, s17, s22
	s_mul_i32 s21, s12, s21
	s_addc_u32 s17, s23, s25
	s_addc_u32 s22, s26, 0
	s_add_u32 s17, s17, s21
	s_addc_u32 s21, 0, s22
	v_add_co_u32 v1, s17, v1, s17
	s_delay_alu instid0(VALU_DEP_1) | instskip(SKIP_1) | instid1(VALU_DEP_1)
	s_cmp_lg_u32 s17, 0
	s_addc_u32 s12, s12, s21
	v_readfirstlane_b32 s17, v1
	s_mul_i32 s21, s18, s12
	s_delay_alu instid0(VALU_DEP_1)
	s_mul_hi_u32 s22, s18, s17
	s_mul_i32 s19, s19, s17
	s_add_i32 s21, s22, s21
	s_mul_i32 s18, s18, s17
	s_add_i32 s21, s21, s19
	s_mul_hi_u32 s22, s12, s18
	s_mul_i32 s23, s12, s18
	s_mul_hi_u32 s18, s17, s18
	s_mul_hi_u32 s24, s17, s21
	s_mul_i32 s17, s17, s21
	s_mul_hi_u32 s19, s12, s21
	s_add_u32 s17, s18, s17
	s_addc_u32 s18, 0, s24
	s_add_u32 s17, s17, s23
	s_mul_i32 s21, s12, s21
	s_addc_u32 s17, s18, s22
	s_addc_u32 s18, s19, 0
	s_add_u32 s17, s17, s21
	s_addc_u32 s18, 0, s18
	v_add_co_u32 v1, s17, v1, s17
	s_delay_alu instid0(VALU_DEP_1) | instskip(SKIP_2) | instid1(SALU_CYCLE_1)
	s_cmp_lg_u32 s17, 0
	s_addc_u32 s12, s12, s18
	s_ashr_i32 s18, s3, 31
	s_add_u32 s22, s11, s18
	s_addc_u32 s23, s3, s18
	v_readfirstlane_b32 s3, v1
	s_mov_b32 s19, s18
	s_delay_alu instid0(SALU_CYCLE_1) | instskip(NEXT) | instid1(SALU_CYCLE_1)
	s_xor_b64 s[22:23], s[22:23], s[18:19]
	s_mul_i32 s21, s22, s12
	s_delay_alu instid0(VALU_DEP_1)
	s_mul_hi_u32 s24, s22, s3
	s_mul_hi_u32 s17, s22, s12
	s_mul_hi_u32 s26, s23, s3
	s_mul_i32 s3, s23, s3
	s_add_u32 s21, s24, s21
	s_addc_u32 s17, 0, s17
	s_mul_hi_u32 s25, s23, s12
	s_add_u32 s3, s21, s3
	s_mul_i32 s12, s23, s12
	s_addc_u32 s3, s17, s26
	s_addc_u32 s17, s25, 0
	s_add_u32 s3, s3, s12
	s_addc_u32 s12, 0, s17
	s_mul_i32 s21, s20, s3
	s_add_u32 s17, s3, 1
	v_sub_co_u32 v1, s21, s22, s21
	s_mul_hi_u32 s22, s20, s3
	s_addc_u32 s24, s12, 0
	s_mul_i32 s25, s20, s12
	s_delay_alu instid0(VALU_DEP_1)
	v_sub_co_u32 v2, s26, v1, s20
	s_add_u32 s27, s3, 2
	s_addc_u32 s28, s12, 0
	s_add_i32 s22, s22, s25
	s_cmp_lg_u32 s21, 0
	v_readfirstlane_b32 s21, v2
	s_subb_u32 s22, s23, s22
	s_cmp_lg_u32 s26, 0
	s_subb_u32 s23, s22, 0
	s_delay_alu instid0(VALU_DEP_1) | instskip(SKIP_4) | instid1(SALU_CYCLE_1)
	s_cmp_ge_u32 s21, s20
	s_cselect_b32 s21, -1, 0
	s_cmp_eq_u32 s23, 0
	v_readfirstlane_b32 s23, v1
	s_cselect_b32 s21, s21, -1
	s_cmp_lg_u32 s21, 0
	s_cselect_b32 s17, s27, s17
	s_cselect_b32 s21, s28, s24
	s_cmp_ge_u32 s23, s20
	s_cselect_b32 s23, -1, 0
	s_cmp_eq_u32 s22, 0
	s_cselect_b32 s22, s23, -1
	s_delay_alu instid0(SALU_CYCLE_1) | instskip(SKIP_2) | instid1(SALU_CYCLE_1)
	s_cmp_lg_u32 s22, 0
	s_cselect_b32 s23, s21, s12
	s_cselect_b32 s22, s17, s3
	s_xor_b64 s[22:23], s[22:23], s[18:19]
	s_delay_alu instid0(SALU_CYCLE_1)
	s_sub_u32 s18, s22, s18
	s_and_not1_b32 vcc_lo, exec_lo, s2
	s_cbranch_vccnz .LBB3_6
.LBB3_5:
	v_cvt_f32_u32_e32 v1, s20
	s_sub_i32 s3, 0, s20
	s_delay_alu instid0(VALU_DEP_1) | instskip(SKIP_2) | instid1(VALU_DEP_1)
	v_rcp_iflag_f32_e32 v1, v1
	s_waitcnt_depctr 0xfff
	v_mul_f32_e32 v1, 0x4f7ffffe, v1
	v_cvt_u32_f32_e32 v1, v1
	s_delay_alu instid0(VALU_DEP_1) | instskip(NEXT) | instid1(VALU_DEP_1)
	v_readfirstlane_b32 s2, v1
	s_mul_i32 s3, s3, s2
	s_delay_alu instid0(SALU_CYCLE_1) | instskip(NEXT) | instid1(SALU_CYCLE_1)
	s_mul_hi_u32 s3, s2, s3
	s_add_i32 s2, s2, s3
	s_delay_alu instid0(SALU_CYCLE_1) | instskip(NEXT) | instid1(SALU_CYCLE_1)
	s_mul_hi_u32 s2, s11, s2
	s_mul_i32 s3, s2, s20
	s_delay_alu instid0(SALU_CYCLE_1)
	s_sub_i32 s3, s11, s3
	s_add_i32 s11, s2, 1
	s_sub_i32 s12, s3, s20
	s_cmp_ge_u32 s3, s20
	s_cselect_b32 s2, s11, s2
	s_cselect_b32 s3, s12, s3
	s_add_i32 s11, s2, 1
	s_cmp_ge_u32 s3, s20
	s_cselect_b32 s18, s11, s2
.LBB3_6:
	s_delay_alu instid0(SALU_CYCLE_1) | instskip(SKIP_3) | instid1(SALU_CYCLE_1)
	s_cmp_eq_u32 s16, s18
	s_mul_hi_u32 s2, s16, s8
	s_cselect_b32 s3, -1, 0
	s_add_i32 s2, s2, s16
	s_lshr_b32 s11, s2, s9
	s_delay_alu instid0(SALU_CYCLE_1) | instskip(NEXT) | instid1(SALU_CYCLE_1)
	s_mul_i32 s2, s11, s10
	s_cmp_eq_u32 s2, s16
	s_mul_hi_u32 s2, s18, s8
	s_cselect_b32 s12, -1, 0
	s_add_i32 s2, s2, s18
	s_delay_alu instid0(SALU_CYCLE_1) | instskip(NEXT) | instid1(SALU_CYCLE_1)
	s_lshr_b32 s2, s2, s9
	s_cmp_eq_u32 s11, s2
	s_mul_i32 s2, s2, s10
	s_cselect_b32 s17, -1, 0
	s_cmp_lg_u32 s2, s18
	s_cselect_b32 s2, -1, 0
	s_or_b32 s3, s3, s12
	s_and_b32 s2, s17, s2
	s_delay_alu instid0(SALU_CYCLE_1) | instskip(NEXT) | instid1(SALU_CYCLE_1)
	s_or_b32 s2, s3, s2
	s_and_b32 vcc_lo, exec_lo, s2
	s_cbranch_vccnz .LBB3_24
; %bb.7:
	s_load_b256 s[24:31], s[0:1], 0x20
	s_waitcnt lgkmcnt(0)
	s_mul_hi_u32 s2, s16, s24
	s_delay_alu instid0(SALU_CYCLE_1) | instskip(NEXT) | instid1(SALU_CYCLE_1)
	s_add_i32 s2, s2, s16
	s_lshr_b32 s17, s2, s25
	s_load_b32 s2, s[0:1], 0x40
	s_mul_i32 s3, s17, s26
	s_delay_alu instid0(SALU_CYCLE_1) | instskip(NEXT) | instid1(SALU_CYCLE_1)
	s_sub_i32 s3, s16, s3
	s_mul_hi_u32 s12, s3, s27
	s_delay_alu instid0(SALU_CYCLE_1) | instskip(NEXT) | instid1(SALU_CYCLE_1)
	s_add_i32 s12, s3, s12
	s_lshr_b32 s21, s12, s28
	s_delay_alu instid0(SALU_CYCLE_1) | instskip(NEXT) | instid1(SALU_CYCLE_1)
	s_mul_i32 s12, s21, s29
	s_sub_i32 s3, s3, s12
	s_delay_alu instid0(SALU_CYCLE_1) | instskip(NEXT) | instid1(SALU_CYCLE_1)
	s_mul_hi_u32 s12, s3, s30
	s_add_i32 s12, s3, s12
	s_delay_alu instid0(SALU_CYCLE_1)
	s_lshr_b32 s12, s12, s31
	s_waitcnt lgkmcnt(0)
	s_mul_i32 s2, s12, s2
	s_lshl_b32 s23, s12, 4
	s_sub_i32 s2, s3, s2
	s_mov_b32 s12, 0
	s_mul_hi_u32 s3, s2, s8
	s_delay_alu instid0(SALU_CYCLE_1) | instskip(NEXT) | instid1(SALU_CYCLE_1)
	s_add_i32 s2, s2, s3
	s_lshr_b32 s22, s2, s9
	s_delay_alu instid0(SALU_CYCLE_1) | instskip(NEXT) | instid1(SALU_CYCLE_1)
	s_lshl_b32 s2, s22, 1
	s_add_i32 s2, s2, s14
	s_delay_alu instid0(SALU_CYCLE_1) | instskip(SKIP_2) | instid1(SALU_CYCLE_1)
	s_cmp_lt_i32 s2, s4
	s_cselect_b32 s2, -1, 0
	s_add_i32 s3, s23, s15
	s_cmp_lt_i32 s3, s6
	s_cselect_b32 s3, -1, 0
	s_delay_alu instid0(SALU_CYCLE_1) | instskip(NEXT) | instid1(SALU_CYCLE_1)
	s_and_b32 s2, s2, s3
	s_and_not1_b32 vcc_lo, exec_lo, s2
	s_cbranch_vccnz .LBB3_24
; %bb.8:
	s_load_b128 s[0:3], s[0:1], 0x0
	s_lshl_b32 s18, s20, 7
	s_mov_b32 s19, s12
	s_lshl_b32 s24, s14, 4
	s_lshl_b64 s[18:19], s[18:19], 2
	s_mul_i32 s4, s17, s4
	s_add_i32 s17, s24, s15
	s_mul_i32 s21, s21, s6
	v_cvt_f32_ubyte0_e32 v4, 0
	v_cvt_f32_u32_e32 v5, s20
	s_waitcnt lgkmcnt(0)
	s_add_u32 s18, s2, s18
	s_addc_u32 s19, s3, s19
	s_add_i32 s4, s4, s14
	s_delay_alu instid0(SALU_CYCLE_1) | instskip(SKIP_4) | instid1(SALU_CYCLE_1)
	s_mul_i32 s4, s4, s5
	s_mul_i32 s5, s5, s22
	s_add_i32 s4, s4, s15
	s_lshl_b32 s5, s5, 8
	s_add_i32 s4, s4, s21
	s_add_i32 s4, s4, s23
	s_delay_alu instid0(SALU_CYCLE_1) | instskip(NEXT) | instid1(SALU_CYCLE_1)
	s_lshl_b32 s4, s4, 7
	s_add_i32 s5, s5, s4
	s_delay_alu instid0(SALU_CYCLE_1) | instskip(SKIP_1) | instid1(VALU_DEP_2)
	v_or_b32_e32 v1, s5, v0
	v_lshl_or_b32 v0, s17, 7, v0
	v_ashrrev_i32_e32 v2, 31, v1
	s_delay_alu instid0(VALU_DEP_1) | instskip(NEXT) | instid1(VALU_DEP_1)
	v_lshlrev_b64 v[1:2], 2, v[1:2]
	v_add_co_u32 v1, vcc_lo, s0, v1
	s_delay_alu instid0(VALU_DEP_2) | instskip(SKIP_1) | instid1(SALU_CYCLE_1)
	v_add_co_ci_u32_e32 v2, vcc_lo, s1, v2, vcc_lo
	s_lshl_b32 s0, s13, 5
	s_add_i32 s0, s17, s0
	global_load_b32 v3, v[1:2], off
	s_ashr_i32 s1, s0, 31
	s_delay_alu instid0(SALU_CYCLE_1) | instskip(NEXT) | instid1(SALU_CYCLE_1)
	s_lshl_b64 s[0:1], s[0:1], 3
	s_add_u32 s0, s2, s0
	s_addc_u32 s1, s3, s1
	s_add_i32 s14, s13, -1
	s_load_b64 s[0:1], s[0:1], 0x0
	v_fmac_f32_e32 v5, 0x4f800000, v4
	s_sub_i32 s6, 0, s20
	s_waitcnt lgkmcnt(0)
	v_mov_b32_e32 v8, s0
	s_delay_alu instid0(VALU_DEP_2) | instskip(SKIP_2) | instid1(VALU_DEP_2)
	v_rcp_f32_e32 v4, v5
	v_cvt_f32_u32_e32 v5, s20
	v_mov_b32_e32 v7, s1
	v_rcp_iflag_f32_e32 v5, v5
	s_waitcnt_depctr 0xfff
	v_mul_f32_e32 v4, 0x5f7ffffc, v4
	s_delay_alu instid0(VALU_DEP_1) | instskip(SKIP_1) | instid1(VALU_DEP_2)
	v_mul_f32_e32 v6, 0x2f800000, v4
	v_mul_f32_e32 v9, 0x4f7ffffe, v5
	v_trunc_f32_e32 v6, v6
	s_delay_alu instid0(VALU_DEP_1) | instskip(SKIP_1) | instid1(VALU_DEP_4)
	v_fmac_f32_e32 v4, 0xcf800000, v6
	v_cvt_u32_f32_e32 v5, v6
	v_cvt_u32_f32_e32 v6, v9
	s_delay_alu instid0(VALU_DEP_3)
	v_cvt_u32_f32_e32 v4, v4
.LBB3_9:                                ; =>This Inner Loop Header: Depth=1
	s_mul_hi_i32 s13, s14, s7
	s_mul_i32 s4, s14, s7
	s_cmp_lg_u64 s[12:13], 0
	s_mov_b32 s5, -1
                                        ; implicit-def: $sgpr0_sgpr1
	s_cbranch_scc0 .LBB3_11
; %bb.10:                               ;   in Loop: Header=BB3_9 Depth=1
	v_readfirstlane_b32 s0, v4
	v_readfirstlane_b32 s1, v5
	s_sub_u32 s5, 0, s20
	s_subb_u32 s15, 0, 0
	s_delay_alu instid0(VALU_DEP_2) | instskip(NEXT) | instid1(VALU_DEP_1)
	s_mul_hi_u32 s21, s5, s0
	s_mul_i32 s22, s5, s1
	s_mul_i32 s23, s15, s0
	s_add_i32 s21, s21, s22
	s_mul_i32 s22, s5, s0
	s_add_i32 s21, s21, s23
	s_mul_hi_u32 s23, s0, s22
	s_mul_i32 s24, s0, s21
	s_mul_hi_u32 s0, s0, s21
	s_add_u32 s23, s23, s24
	s_mul_i32 s25, s1, s22
	s_addc_u32 s0, 0, s0
	s_mul_hi_u32 s22, s1, s22
	s_mul_hi_u32 s24, s1, s21
	s_add_u32 s23, s23, s25
	s_addc_u32 s0, s0, s22
	s_mul_i32 s21, s1, s21
	s_addc_u32 s22, s24, 0
	s_add_u32 s0, s0, s21
	s_addc_u32 s21, 0, s22
	v_add_co_u32 v9, s0, v4, s0
	s_delay_alu instid0(VALU_DEP_1) | instskip(SKIP_1) | instid1(VALU_DEP_1)
	s_cmp_lg_u32 s0, 0
	s_addc_u32 s1, s1, s21
	v_readfirstlane_b32 s0, v9
	s_mul_i32 s21, s5, s1
	s_delay_alu instid0(VALU_DEP_1)
	s_mul_hi_u32 s22, s5, s0
	s_mul_i32 s15, s15, s0
	s_add_i32 s21, s22, s21
	s_mul_i32 s5, s5, s0
	s_add_i32 s21, s21, s15
	s_mul_hi_u32 s15, s1, s5
	s_mul_i32 s23, s1, s5
	s_mul_i32 s24, s0, s21
	s_mul_hi_u32 s5, s0, s5
	s_mul_hi_u32 s0, s0, s21
	s_add_u32 s5, s5, s24
	s_addc_u32 s0, 0, s0
	s_mul_hi_u32 s22, s1, s21
	s_add_u32 s5, s5, s23
	s_addc_u32 s0, s0, s15
	s_mul_i32 s5, s1, s21
	s_addc_u32 s15, s22, 0
	s_add_u32 s0, s0, s5
	s_addc_u32 s5, 0, s15
	v_add_co_u32 v9, s0, v9, s0
	s_delay_alu instid0(VALU_DEP_1) | instskip(SKIP_2) | instid1(SALU_CYCLE_1)
	s_cmp_lg_u32 s0, 0
	s_addc_u32 s5, s1, s5
	s_ashr_i32 s0, s13, 31
	s_add_u32 s22, s4, s0
	s_addc_u32 s23, s13, s0
	v_readfirstlane_b32 s13, v9
	s_mov_b32 s1, s0
	s_delay_alu instid0(SALU_CYCLE_1) | instskip(NEXT) | instid1(SALU_CYCLE_1)
	s_xor_b64 s[22:23], s[22:23], s[0:1]
	s_mul_i32 s15, s22, s5
	s_delay_alu instid0(VALU_DEP_1)
	s_mul_hi_u32 s21, s22, s13
	s_mul_hi_u32 s24, s22, s5
	s_add_u32 s15, s21, s15
	s_mul_i32 s25, s23, s13
	s_addc_u32 s21, 0, s24
	s_mul_hi_u32 s13, s23, s13
	s_mul_hi_u32 s24, s23, s5
	s_add_u32 s15, s15, s25
	s_addc_u32 s13, s21, s13
	s_mul_i32 s5, s23, s5
	s_addc_u32 s15, s24, 0
	s_add_u32 s5, s13, s5
	s_addc_u32 s13, 0, s15
	s_mul_i32 s21, s20, s5
	s_add_u32 s15, s5, 1
	v_sub_co_u32 v9, s21, s22, s21
	s_addc_u32 s22, s13, 0
	s_mul_i32 s25, s20, s13
	s_mul_hi_u32 s27, s20, s5
	s_delay_alu instid0(VALU_DEP_1)
	v_sub_co_u32 v10, s26, v9, s20
	s_add_u32 s24, s5, 2
	s_addc_u32 s28, s13, 0
	s_add_i32 s27, s27, s25
	s_cmp_lg_u32 s21, 0
	v_readfirstlane_b32 s21, v10
	s_subb_u32 s23, s23, s27
	s_cmp_lg_u32 s26, 0
	s_subb_u32 s25, s23, 0
	s_delay_alu instid0(VALU_DEP_1) | instskip(SKIP_4) | instid1(SALU_CYCLE_1)
	s_cmp_ge_u32 s21, s20
	s_cselect_b32 s21, -1, 0
	s_cmp_eq_u32 s25, 0
	v_readfirstlane_b32 s25, v9
	s_cselect_b32 s21, s21, -1
	s_cmp_lg_u32 s21, 0
	s_cselect_b32 s15, s24, s15
	s_cselect_b32 s21, s28, s22
	s_cmp_ge_u32 s25, s20
	s_cselect_b32 s22, -1, 0
	s_cmp_eq_u32 s23, 0
	s_cselect_b32 s22, s22, -1
	s_delay_alu instid0(SALU_CYCLE_1) | instskip(SKIP_4) | instid1(SALU_CYCLE_1)
	s_cmp_lg_u32 s22, 0
	s_cselect_b32 s23, s21, s13
	s_cselect_b32 s22, s15, s5
	s_mov_b32 s5, 0
	s_xor_b64 s[22:23], s[22:23], s[0:1]
	s_sub_u32 s0, s22, s0
.LBB3_11:                               ;   in Loop: Header=BB3_9 Depth=1
	s_and_not1_b32 vcc_lo, exec_lo, s5
	s_cbranch_vccnz .LBB3_13
; %bb.12:                               ;   in Loop: Header=BB3_9 Depth=1
	v_readfirstlane_b32 s0, v6
	s_delay_alu instid0(VALU_DEP_1) | instskip(NEXT) | instid1(SALU_CYCLE_1)
	s_mul_i32 s1, s6, s0
	s_mul_hi_u32 s1, s0, s1
	s_delay_alu instid0(SALU_CYCLE_1) | instskip(NEXT) | instid1(SALU_CYCLE_1)
	s_add_i32 s0, s0, s1
	s_mul_hi_u32 s0, s4, s0
	s_delay_alu instid0(SALU_CYCLE_1) | instskip(NEXT) | instid1(SALU_CYCLE_1)
	s_mul_i32 s1, s0, s20
	s_sub_i32 s1, s4, s1
	s_add_i32 s4, s0, 1
	s_sub_i32 s5, s1, s20
	s_cmp_ge_u32 s1, s20
	s_cselect_b32 s0, s4, s0
	s_cselect_b32 s1, s5, s1
	s_add_i32 s4, s0, 1
	s_cmp_ge_u32 s1, s20
	s_cselect_b32 s0, s4, s0
.LBB3_13:                               ;   in Loop: Header=BB3_9 Depth=1
	s_delay_alu instid0(SALU_CYCLE_1)
	s_cmp_lg_u32 s16, s0
	s_cbranch_scc0 .LBB3_17
; %bb.14:                               ;   in Loop: Header=BB3_9 Depth=1
	s_add_i32 s1, s14, s20
	s_mov_b32 s5, s12
	s_lshl_b32 s1, s1, 5
	s_mov_b32 s15, s16
	s_add_i32 s4, s1, s17
	s_mul_hi_u32 s1, s0, s8
	s_lshl_b64 s[4:5], s[4:5], 3
	s_delay_alu instid0(SALU_CYCLE_1) | instskip(SKIP_2) | instid1(SALU_CYCLE_1)
	s_add_u32 s4, s2, s4
	s_addc_u32 s5, s3, s5
	s_add_i32 s1, s1, s0
	s_lshr_b32 s1, s1, s9
	s_delay_alu instid0(SALU_CYCLE_1) | instskip(NEXT) | instid1(SALU_CYCLE_1)
	s_mul_i32 s13, s1, s10
	s_cmp_eq_u32 s13, s0
	s_cselect_b32 s13, -1, 0
	s_cmp_lt_u32 s1, s11
	s_cselect_b32 s1, -1, 0
	s_delay_alu instid0(SALU_CYCLE_1)
	s_or_b32 s1, s1, s13
	s_mov_b32 s13, -1
	s_and_b32 vcc_lo, exec_lo, s1
	s_mov_b32 s1, s14
	s_cbranch_vccnz .LBB3_16
; %bb.15:                               ;   in Loop: Header=BB3_9 Depth=1
	s_add_i32 s1, s14, -1
	s_mov_b32 s13, 0
	s_mov_b32 s15, s0
.LBB3_16:                               ;   in Loop: Header=BB3_9 Depth=1
	v_lshl_add_u32 v9, s14, 12, v0
	s_load_b64 s[4:5], s[4:5], 0x0
	s_delay_alu instid0(VALU_DEP_1) | instskip(NEXT) | instid1(VALU_DEP_1)
	v_ashrrev_i32_e32 v10, 31, v9
	v_lshlrev_b64 v[9:10], 2, v[9:10]
	s_delay_alu instid0(VALU_DEP_1) | instskip(NEXT) | instid1(VALU_DEP_2)
	v_add_co_u32 v9, vcc_lo, s18, v9
	v_add_co_ci_u32_e32 v10, vcc_lo, s19, v10, vcc_lo
	s_waitcnt lgkmcnt(0)
	v_max_f32_e64 v11, s4, s4
	global_load_b32 v10, v[9:10], off
	v_max_f32_e32 v9, v8, v8
	s_delay_alu instid0(VALU_DEP_1) | instskip(NEXT) | instid1(VALU_DEP_1)
	v_max_f32_e32 v9, v9, v11
	v_sub_f32_e32 v12, v8, v9
	s_delay_alu instid0(VALU_DEP_1) | instskip(NEXT) | instid1(VALU_DEP_1)
	v_dual_mul_f32 v14, 0x3fb8aa3b, v12 :: v_dual_sub_f32 v11, s4, v9
	v_rndne_f32_e32 v18, v14
	s_delay_alu instid0(VALU_DEP_2) | instskip(SKIP_2) | instid1(VALU_DEP_4)
	v_mul_f32_e32 v13, 0x3fb8aa3b, v11
	v_fma_f32 v17, 0x3fb8aa3b, v12, -v14
	v_cmp_ngt_f32_e32 vcc_lo, 0xc2ce8ed0, v11
	v_sub_f32_e32 v14, v14, v18
	s_delay_alu instid0(VALU_DEP_4) | instskip(SKIP_2) | instid1(VALU_DEP_3)
	v_fma_f32 v15, 0x3fb8aa3b, v11, -v13
	v_rndne_f32_e32 v16, v13
	v_fmac_f32_e32 v17, 0x32a5705f, v12
	v_fmac_f32_e32 v15, 0x32a5705f, v11
	s_delay_alu instid0(VALU_DEP_2) | instskip(NEXT) | instid1(VALU_DEP_1)
	v_dual_sub_f32 v13, v13, v16 :: v_dual_add_f32 v14, v14, v17
	v_add_f32_e32 v13, v13, v15
	s_delay_alu instid0(VALU_DEP_2) | instskip(SKIP_2) | instid1(VALU_DEP_3)
	v_exp_f32_e32 v14, v14
	v_cvt_i32_f32_e32 v15, v16
	v_cvt_i32_f32_e32 v16, v18
	v_exp_f32_e32 v13, v13
	s_waitcnt_depctr 0xfff
	v_ldexp_f32 v14, v14, v16
	v_ldexp_f32 v13, v13, v15
	s_delay_alu instid0(VALU_DEP_1) | instskip(SKIP_1) | instid1(VALU_DEP_4)
	v_cndmask_b32_e32 v13, 0, v13, vcc_lo
	v_cmp_ngt_f32_e32 vcc_lo, 0xc2ce8ed0, v12
	v_cndmask_b32_e32 v14, 0, v14, vcc_lo
	v_cmp_nlt_f32_e32 vcc_lo, 0x42b17218, v11
	s_delay_alu instid0(VALU_DEP_4) | instskip(SKIP_1) | instid1(VALU_DEP_4)
	v_cndmask_b32_e32 v13, 0x7f800000, v13, vcc_lo
	v_cmp_nlt_f32_e32 vcc_lo, 0x42b17218, v12
	v_cndmask_b32_e32 v14, 0x7f800000, v14, vcc_lo
	v_cmp_le_f32_e32 vcc_lo, 0xc1a00000, v11
	s_delay_alu instid0(VALU_DEP_4) | instskip(SKIP_1) | instid1(VALU_DEP_4)
	v_cndmask_b32_e32 v11, 0, v13, vcc_lo
	v_cmp_le_f32_e32 vcc_lo, 0xc1a00000, v12
	v_cndmask_b32_e32 v12, 0, v14, vcc_lo
	s_waitcnt vmcnt(0)
	s_delay_alu instid0(VALU_DEP_3) | instskip(NEXT) | instid1(VALU_DEP_1)
	v_mul_f32_e32 v10, v10, v11
	v_dual_mul_f32 v11, s5, v11 :: v_dual_fmac_f32 v10, v3, v12
	s_delay_alu instid0(VALU_DEP_1)
	v_fmac_f32_e32 v11, v7, v12
	s_cbranch_execz .LBB3_18
	s_branch .LBB3_19
.LBB3_17:                               ;   in Loop: Header=BB3_9 Depth=1
                                        ; implicit-def: $sgpr13
                                        ; implicit-def: $vgpr10
                                        ; implicit-def: $vgpr9
                                        ; implicit-def: $vgpr11
                                        ; implicit-def: $sgpr1
                                        ; implicit-def: $sgpr15
.LBB3_18:                               ;   in Loop: Header=BB3_9 Depth=1
	v_mov_b32_e32 v11, v7
	s_waitcnt vmcnt(0)
	v_dual_mov_b32 v9, v8 :: v_dual_mov_b32 v10, v3
	s_add_i32 s1, s14, -1
	s_mov_b32 s13, 0
	s_mov_b32 s15, s16
.LBB3_19:                               ;   in Loop: Header=BB3_9 Depth=1
	s_and_not1_b32 vcc_lo, exec_lo, s13
	s_cbranch_vccz .LBB3_23
; %bb.20:                               ;   in Loop: Header=BB3_9 Depth=1
	v_dual_mov_b32 v7, v11 :: v_dual_mov_b32 v8, v9
	s_waitcnt vmcnt(0)
	v_mov_b32_e32 v3, v10
	s_mov_b32 s16, s15
	s_mov_b32 s14, s1
	s_branch .LBB3_9
.LBB3_21:
                                        ; implicit-def: $sgpr16_sgpr17
	s_load_b128 s[8:11], s[0:1], 0x44
	s_branch .LBB3_2
.LBB3_22:
                                        ; implicit-def: $sgpr18_sgpr19
	s_branch .LBB3_5
.LBB3_23:
	v_div_scale_f32 v0, null, v11, v11, v10
	s_waitcnt vmcnt(0)
	s_delay_alu instid0(VALU_DEP_1) | instskip(SKIP_2) | instid1(VALU_DEP_1)
	v_rcp_f32_e32 v3, v0
	s_waitcnt_depctr 0xfff
	v_fma_f32 v4, -v0, v3, 1.0
	v_fmac_f32_e32 v3, v4, v3
	v_div_scale_f32 v4, vcc_lo, v10, v11, v10
	s_delay_alu instid0(VALU_DEP_1) | instskip(NEXT) | instid1(VALU_DEP_1)
	v_mul_f32_e32 v5, v4, v3
	v_fma_f32 v6, -v0, v5, v4
	s_delay_alu instid0(VALU_DEP_1) | instskip(NEXT) | instid1(VALU_DEP_1)
	v_fmac_f32_e32 v5, v6, v3
	v_fma_f32 v0, -v0, v5, v4
	s_delay_alu instid0(VALU_DEP_1) | instskip(NEXT) | instid1(VALU_DEP_1)
	v_div_fmas_f32 v0, v0, v3, v5
	v_div_fixup_f32 v0, v0, v11, v10
	global_store_b32 v[1:2], v0, off
.LBB3_24:
	s_nop 0
	s_sendmsg sendmsg(MSG_DEALLOC_VGPRS)
	s_endpgm
	.section	.rodata,"a",@progbits
	.p2align	6, 0x0
	.amdhsa_kernel _ZL33flash_attn_stream_k_fixup_generalILi128ELi2ELi16EEvPfPK15HIP_vector_typeIfLj2EEiiiiS1_IjLj3EES5_S5_S5_
		.amdhsa_group_segment_fixed_size 0
		.amdhsa_private_segment_fixed_size 0
		.amdhsa_kernarg_size 336
		.amdhsa_user_sgpr_count 13
		.amdhsa_user_sgpr_dispatch_ptr 0
		.amdhsa_user_sgpr_queue_ptr 0
		.amdhsa_user_sgpr_kernarg_segment_ptr 1
		.amdhsa_user_sgpr_dispatch_id 0
		.amdhsa_user_sgpr_private_segment_size 0
		.amdhsa_wavefront_size32 1
		.amdhsa_uses_dynamic_stack 0
		.amdhsa_enable_private_segment 0
		.amdhsa_system_sgpr_workgroup_id_x 1
		.amdhsa_system_sgpr_workgroup_id_y 1
		.amdhsa_system_sgpr_workgroup_id_z 1
		.amdhsa_system_sgpr_workgroup_info 0
		.amdhsa_system_vgpr_workitem_id 0
		.amdhsa_next_free_vgpr 19
		.amdhsa_next_free_sgpr 32
		.amdhsa_reserve_vcc 1
		.amdhsa_float_round_mode_32 0
		.amdhsa_float_round_mode_16_64 0
		.amdhsa_float_denorm_mode_32 3
		.amdhsa_float_denorm_mode_16_64 3
		.amdhsa_dx10_clamp 1
		.amdhsa_ieee_mode 1
		.amdhsa_fp16_overflow 0
		.amdhsa_workgroup_processor_mode 1
		.amdhsa_memory_ordered 1
		.amdhsa_forward_progress 0
		.amdhsa_shared_vgpr_count 0
		.amdhsa_exception_fp_ieee_invalid_op 0
		.amdhsa_exception_fp_denorm_src 0
		.amdhsa_exception_fp_ieee_div_zero 0
		.amdhsa_exception_fp_ieee_overflow 0
		.amdhsa_exception_fp_ieee_underflow 0
		.amdhsa_exception_fp_ieee_inexact 0
		.amdhsa_exception_int_div_zero 0
	.end_amdhsa_kernel
	.section	.text._ZL33flash_attn_stream_k_fixup_generalILi128ELi2ELi16EEvPfPK15HIP_vector_typeIfLj2EEiiiiS1_IjLj3EES5_S5_S5_,"axG",@progbits,_ZL33flash_attn_stream_k_fixup_generalILi128ELi2ELi16EEvPfPK15HIP_vector_typeIfLj2EEiiiiS1_IjLj3EES5_S5_S5_,comdat
.Lfunc_end3:
	.size	_ZL33flash_attn_stream_k_fixup_generalILi128ELi2ELi16EEvPfPK15HIP_vector_typeIfLj2EEiiiiS1_IjLj3EES5_S5_S5_, .Lfunc_end3-_ZL33flash_attn_stream_k_fixup_generalILi128ELi2ELi16EEvPfPK15HIP_vector_typeIfLj2EEiiiiS1_IjLj3EES5_S5_S5_
                                        ; -- End function
	.section	.AMDGPU.csdata,"",@progbits
; Kernel info:
; codeLenInByte = 3224
; NumSgprs: 34
; NumVgprs: 19
; ScratchSize: 0
; MemoryBound: 0
; FloatMode: 240
; IeeeMode: 1
; LDSByteSize: 0 bytes/workgroup (compile time only)
; SGPRBlocks: 4
; VGPRBlocks: 2
; NumSGPRsForWavesPerEU: 34
; NumVGPRsForWavesPerEU: 19
; Occupancy: 16
; WaveLimiterHint : 0
; COMPUTE_PGM_RSRC2:SCRATCH_EN: 0
; COMPUTE_PGM_RSRC2:USER_SGPR: 13
; COMPUTE_PGM_RSRC2:TRAP_HANDLER: 0
; COMPUTE_PGM_RSRC2:TGID_X_EN: 1
; COMPUTE_PGM_RSRC2:TGID_Y_EN: 1
; COMPUTE_PGM_RSRC2:TGID_Z_EN: 1
; COMPUTE_PGM_RSRC2:TIDIG_COMP_CNT: 0
	.section	.text._ZL26flash_attn_combine_resultsILi128EEvPKfPK15HIP_vector_typeIfLj2EEPfi,"axG",@progbits,_ZL26flash_attn_combine_resultsILi128EEvPKfPK15HIP_vector_typeIfLj2EEPfi,comdat
	.globl	_ZL26flash_attn_combine_resultsILi128EEvPKfPK15HIP_vector_typeIfLj2EEPfi ; -- Begin function _ZL26flash_attn_combine_resultsILi128EEvPKfPK15HIP_vector_typeIfLj2EEPfi
	.p2align	8
	.type	_ZL26flash_attn_combine_resultsILi128EEvPKfPK15HIP_vector_typeIfLj2EEPfi,@function
_ZL26flash_attn_combine_resultsILi128EEvPKfPK15HIP_vector_typeIfLj2EEPfi: ; @_ZL26flash_attn_combine_resultsILi128EEvPKfPK15HIP_vector_typeIfLj2EEPfi
; %bb.0:
	s_clause 0x3
	s_load_b64 s[2:3], s[0:1], 0x20
	s_load_b32 s11, s[0:1], 0x18
	s_load_b128 s[4:7], s[0:1], 0x0
	s_load_b64 s[8:9], s[0:1], 0x10
	v_lshlrev_b32_e32 v5, 2, v0
	s_mov_b32 s12, exec_lo
	s_waitcnt lgkmcnt(0)
	s_mul_i32 s0, s2, s15
	s_lshl_b32 s1, s11, 1
	s_add_i32 s0, s0, s13
	s_delay_alu instid0(SALU_CYCLE_1) | instskip(NEXT) | instid1(SALU_CYCLE_1)
	s_mul_i32 s10, s0, s3
	s_add_i32 s10, s10, s14
	s_delay_alu instid0(SALU_CYCLE_1)
	s_mul_i32 s2, s10, s11
	v_cmpx_gt_i32_e64 s1, v0
	s_cbranch_execz .LBB4_3
; %bb.1:
	s_ashr_i32 s3, s2, 31
	v_dual_mov_b32 v4, v0 :: v_dual_add_nc_u32 v3, 0, v5
	s_lshl_b64 s[14:15], s[2:3], 3
	s_delay_alu instid0(SALU_CYCLE_1) | instskip(SKIP_2) | instid1(VALU_DEP_1)
	s_add_u32 s0, s6, s14
	s_addc_u32 s3, s7, s15
	v_add_co_u32 v1, s0, s0, v5
	v_add_co_ci_u32_e64 v2, null, s3, 0, s0
	s_mov_b32 s3, 0
	.p2align	6
.LBB4_2:                                ; =>This Inner Loop Header: Depth=1
	global_load_b32 v6, v[1:2], off
	v_add_nc_u32_e32 v4, 0x80, v4
	v_add_co_u32 v1, vcc_lo, 0x200, v1
	v_add_co_ci_u32_e32 v2, vcc_lo, 0, v2, vcc_lo
	s_delay_alu instid0(VALU_DEP_3) | instskip(NEXT) | instid1(VALU_DEP_1)
	v_cmp_le_i32_e64 s0, s1, v4
	s_or_b32 s3, s0, s3
	s_waitcnt vmcnt(0)
	ds_store_b32 v3, v6
	v_add_nc_u32_e32 v3, 0x200, v3
	s_and_not1_b32 exec_lo, exec_lo, s3
	s_cbranch_execnz .LBB4_2
.LBB4_3:
	s_or_b32 exec_lo, exec_lo, s12
	v_mov_b32_e32 v1, 0
	s_waitcnt lgkmcnt(0)
	s_barrier
	buffer_gl0_inv
	s_cmp_lt_i32 s11, 2
	ds_load_b32 v6, v1
	s_cbranch_scc1 .LBB4_11
; %bb.4:
	s_add_i32 s1, s11, -2
	s_add_i32 s0, s11, -1
	s_cmp_lt_u32 s1, 7
	s_cbranch_scc1 .LBB4_8
; %bb.5:
	s_mov_b32 s3, 0
	s_add_i32 s1, 0, 8
	s_and_b32 s6, s0, -8
	.p2align	6
.LBB4_6:                                ; =>This Inner Loop Header: Depth=1
	v_mov_b32_e32 v9, s1
	s_mov_b32 s7, s3
	s_add_i32 s3, s3, 8
	s_add_i32 s1, s1, 64
	s_cmp_eq_u32 s6, s3
	ds_load_2addr_b32 v[1:2], v9 offset1:2
	ds_load_2addr_b32 v[3:4], v9 offset0:4 offset1:6
	ds_load_2addr_b32 v[7:8], v9 offset0:8 offset1:10
	ds_load_2addr_b32 v[9:10], v9 offset0:12 offset1:14
	s_waitcnt lgkmcnt(3)
	v_max3_f32 v1, v6, v1, v2
	s_waitcnt lgkmcnt(2)
	s_delay_alu instid0(VALU_DEP_1) | instskip(SKIP_1) | instid1(VALU_DEP_1)
	v_max3_f32 v1, v1, v3, v4
	s_waitcnt lgkmcnt(1)
	v_max3_f32 v1, v1, v7, v8
	s_waitcnt lgkmcnt(0)
	s_delay_alu instid0(VALU_DEP_1)
	v_max3_f32 v6, v1, v9, v10
	s_cbranch_scc0 .LBB4_6
; %bb.7:
	s_add_i32 s1, s7, 9
	s_and_b32 s0, s0, 7
	s_delay_alu instid0(SALU_CYCLE_1)
	s_cmp_eq_u32 s0, 0
	s_cbranch_scc0 .LBB4_9
	s_branch .LBB4_11
.LBB4_8:
	s_mov_b32 s1, 1
	s_and_b32 s0, s0, 7
	s_delay_alu instid0(SALU_CYCLE_1)
	s_cmp_eq_u32 s0, 0
	s_cbranch_scc1 .LBB4_11
.LBB4_9:
	s_lshl_b32 s1, s1, 3
	s_delay_alu instid0(SALU_CYCLE_1)
	s_add_i32 s1, s1, 0
.LBB4_10:                               ; =>This Inner Loop Header: Depth=1
	s_waitcnt lgkmcnt(0)
	s_delay_alu instid0(VALU_DEP_1)
	v_dual_mov_b32 v1, s1 :: v_dual_max_f32 v2, v6, v6
	s_add_i32 s0, s0, -1
	s_add_i32 s1, s1, 8
	s_cmp_lg_u32 s0, 0
	ds_load_b32 v1, v1
	s_waitcnt lgkmcnt(0)
	v_max_f32_e32 v1, v1, v1
	s_delay_alu instid0(VALU_DEP_1)
	v_max_f32_e32 v6, v2, v1
	s_cbranch_scc1 .LBB4_10
.LBB4_11:
	s_cmp_lt_i32 s11, 1
	s_cbranch_scc1 .LBB4_16
; %bb.12:
	s_lshl_b32 s0, s2, 7
	v_mov_b32_e32 v7, 0
	s_ashr_i32 s1, s0, 31
	s_mov_b32 s13, 0
	s_lshl_b64 s[0:1], s[0:1], 2
	s_delay_alu instid0(SALU_CYCLE_1)
	s_add_u32 s6, s4, s0
	s_addc_u32 s7, s5, s1
	s_cmp_lt_u32 s11, 8
	s_cbranch_scc1 .LBB4_17
; %bb.13:
	v_or_b32_e32 v1, 0x380, v0
	v_dual_mov_b32 v4, 0 :: v_dual_mov_b32 v7, 0
	v_mov_b32_e32 v8, 0
	s_and_b32 s12, s11, 0x7ffffff8
	s_mov_b32 s14, 0
.LBB4_14:                               ; =>This Inner Loop Header: Depth=1
	s_delay_alu instid0(VALU_DEP_2) | instskip(SKIP_3) | instid1(VALU_DEP_2)
	v_dual_mov_b32 v2, v4 :: v_dual_add_nc_u32 v3, 0xfffffc80, v1
	v_mov_b32_e32 v21, s13
	s_add_i32 s14, s14, 8
	s_add_i32 s13, s13, 64
	v_lshlrev_b64 v[9:10], 2, v[3:4]
	v_add_nc_u32_e32 v3, 0xfffffd00, v1
	v_lshlrev_b64 v[11:12], 2, v[1:2]
	s_cmp_eq_u32 s12, s14
	s_delay_alu instid0(VALU_DEP_2) | instskip(NEXT) | instid1(VALU_DEP_4)
	v_lshlrev_b64 v[13:14], 2, v[3:4]
	v_add_co_u32 v9, vcc_lo, s6, v9
	v_add_co_ci_u32_e32 v10, vcc_lo, s7, v10, vcc_lo
	v_add_nc_u32_e32 v3, 0xfffffd80, v1
	s_delay_alu instid0(VALU_DEP_4)
	v_add_co_u32 v13, vcc_lo, s6, v13
	global_load_b32 v25, v[9:10], off
	v_add_co_ci_u32_e32 v14, vcc_lo, s7, v14, vcc_lo
	v_lshlrev_b64 v[15:16], 2, v[3:4]
	v_add_nc_u32_e32 v3, 0xfffffe00, v1
	global_load_b32 v26, v[13:14], off
	v_add_co_u32 v13, vcc_lo, s6, v15
	v_add_co_ci_u32_e32 v14, vcc_lo, s7, v16, vcc_lo
	v_lshlrev_b64 v[9:10], 2, v[3:4]
	v_add_nc_u32_e32 v3, 0xfffffe80, v1
	global_load_b32 v27, v[13:14], off
	v_add_co_u32 v9, vcc_lo, s6, v9
	v_lshlrev_b64 v[15:16], 2, v[3:4]
	v_add_nc_u32_e32 v3, 0xffffff00, v1
	v_add_co_ci_u32_e32 v10, vcc_lo, s7, v10, vcc_lo
	global_load_b32 v28, v[9:10], off
	v_lshlrev_b64 v[13:14], 2, v[3:4]
	v_add_nc_u32_e32 v3, 0xffffff80, v1
	v_add_co_u32 v9, vcc_lo, s6, v15
	v_add_co_ci_u32_e32 v10, vcc_lo, s7, v16, vcc_lo
	s_delay_alu instid0(VALU_DEP_4) | instskip(NEXT) | instid1(VALU_DEP_4)
	v_add_co_u32 v13, vcc_lo, s6, v13
	v_lshlrev_b64 v[2:3], 2, v[3:4]
	v_add_co_ci_u32_e32 v14, vcc_lo, s7, v14, vcc_lo
	s_clause 0x1
	global_load_b32 v29, v[9:10], off
	global_load_b32 v30, v[13:14], off
	v_add_co_u32 v2, vcc_lo, s6, v2
	v_add_co_ci_u32_e32 v3, vcc_lo, s7, v3, vcc_lo
	v_add_co_u32 v9, vcc_lo, s6, v11
	v_add_co_ci_u32_e32 v10, vcc_lo, s7, v12, vcc_lo
	s_clause 0x1
	global_load_b32 v2, v[2:3], off
	global_load_b32 v3, v[9:10], off
	ds_load_2addr_b64 v[9:12], v21 offset1:1
	ds_load_2addr_b64 v[13:16], v21 offset0:2 offset1:3
	ds_load_2addr_b64 v[17:20], v21 offset0:4 offset1:5
	;; [unrolled: 1-line block ×3, first 2 shown]
	v_add_nc_u32_e32 v1, 0x400, v1
	s_waitcnt lgkmcnt(1)
	v_sub_f32_e32 v19, v19, v6
	v_sub_f32_e32 v11, v11, v6
	s_waitcnt lgkmcnt(0)
	v_sub_f32_e32 v23, v23, v6
	s_delay_alu instid0(VALU_DEP_3) | instskip(NEXT) | instid1(VALU_DEP_3)
	v_dual_sub_f32 v13, v13, v6 :: v_dual_mul_f32 v36, 0x3fb8aa3b, v19
	v_mul_f32_e32 v32, 0x3fb8aa3b, v11
	s_delay_alu instid0(VALU_DEP_2) | instskip(SKIP_1) | instid1(VALU_DEP_4)
	v_dual_mul_f32 v38, 0x3fb8aa3b, v23 :: v_dual_mul_f32 v33, 0x3fb8aa3b, v13
	v_cmp_ngt_f32_e32 vcc_lo, 0xc2ce8ed0, v13
	v_fma_f32 v49, 0x3fb8aa3b, v19, -v36
	s_delay_alu instid0(VALU_DEP_4) | instskip(SKIP_4) | instid1(VALU_DEP_4)
	v_fma_f32 v41, 0x3fb8aa3b, v11, -v32
	v_rndne_f32_e32 v42, v32
	v_fma_f32 v43, 0x3fb8aa3b, v13, -v33
	v_rndne_f32_e32 v44, v33
	v_rndne_f32_e32 v50, v36
	v_dual_fmac_f32 v41, 0x32a5705f, v11 :: v_dual_sub_f32 v32, v32, v42
	v_sub_f32_e32 v15, v15, v6
	v_fmac_f32_e32 v43, 0x32a5705f, v13
	v_sub_f32_e32 v33, v33, v44
	v_cvt_i32_f32_e32 v42, v42
	v_dual_add_f32 v32, v32, v41 :: v_dual_sub_f32 v9, v9, v6
	v_mul_f32_e32 v34, 0x3fb8aa3b, v15
	s_delay_alu instid0(VALU_DEP_4) | instskip(SKIP_1) | instid1(VALU_DEP_4)
	v_add_f32_e32 v33, v33, v43
	v_cvt_i32_f32_e32 v44, v44
	v_exp_f32_e32 v32, v32
	v_mul_f32_e32 v31, 0x3fb8aa3b, v9
	v_fma_f32 v45, 0x3fb8aa3b, v15, -v34
	v_rndne_f32_e32 v46, v34
	v_exp_f32_e32 v33, v33
	v_cmp_ngt_f32_e64 s5, 0xc2ce8ed0, v9
	v_fma_f32 v39, 0x3fb8aa3b, v9, -v31
	v_rndne_f32_e32 v40, v31
	v_dual_fmac_f32 v45, 0x32a5705f, v15 :: v_dual_sub_f32 v34, v34, v46
	v_sub_f32_e32 v17, v17, v6
	s_delay_alu instid0(VALU_DEP_4) | instskip(NEXT) | instid1(VALU_DEP_4)
	v_fmac_f32_e32 v39, 0x32a5705f, v9
	v_sub_f32_e32 v31, v31, v40
	v_cvt_i32_f32_e32 v40, v40
	v_add_f32_e32 v34, v34, v45
	v_ldexp_f32 v32, v32, v42
	v_ldexp_f32 v33, v33, v44
	v_add_f32_e32 v31, v31, v39
	v_cvt_i32_f32_e32 v46, v46
	v_exp_f32_e32 v34, v34
	v_cmp_ngt_f32_e64 s0, 0xc2ce8ed0, v15
	v_fmac_f32_e32 v49, 0x32a5705f, v19
	v_exp_f32_e32 v31, v31
	v_sub_f32_e32 v36, v36, v50
	v_cvt_i32_f32_e32 v50, v50
	v_cmp_ngt_f32_e64 s1, 0xc2ce8ed0, v17
	v_rndne_f32_e32 v54, v38
	s_delay_alu instid0(VALU_DEP_4) | instskip(NEXT) | instid1(TRANS32_DEP_2)
	v_add_f32_e32 v36, v36, v49
	v_ldexp_f32 v34, v34, v46
	v_cmp_ngt_f32_e64 s2, 0xc2ce8ed0, v19
	s_delay_alu instid0(TRANS32_DEP_1) | instskip(NEXT) | instid1(VALU_DEP_4)
	v_ldexp_f32 v31, v31, v40
	v_exp_f32_e32 v36, v36
	s_delay_alu instid0(VALU_DEP_1) | instskip(SKIP_1) | instid1(VALU_DEP_1)
	v_cndmask_b32_e64 v31, 0, v31, s5
	v_cmp_ngt_f32_e64 s5, 0xc2ce8ed0, v11
	v_cndmask_b32_e64 v32, 0, v32, s5
	v_cmp_nlt_f32_e64 s5, 0x42b17218, v9
	s_waitcnt_depctr 0xfff
	v_ldexp_f32 v36, v36, v50
	v_cndmask_b32_e64 v9, 0x7f800000, v31, s5
	v_cndmask_b32_e32 v31, 0, v33, vcc_lo
	v_cmp_nlt_f32_e32 vcc_lo, 0x42b17218, v11
	s_delay_alu instid0(VALU_DEP_3) | instskip(SKIP_1) | instid1(VALU_DEP_2)
	v_dual_fmac_f32 v8, v9, v10 :: v_dual_cndmask_b32 v11, 0x7f800000, v32
	v_cmp_nlt_f32_e32 vcc_lo, 0x42b17218, v13
	v_fmac_f32_e32 v8, v11, v12
	v_cndmask_b32_e32 v10, 0x7f800000, v31, vcc_lo
	v_cmp_nlt_f32_e32 vcc_lo, 0x42b17218, v15
	v_fma_f32 v53, 0x3fb8aa3b, v23, -v38
	v_sub_f32_e32 v38, v38, v54
	v_cvt_i32_f32_e32 v54, v54
	v_fmac_f32_e32 v8, v10, v14
	v_cmp_ngt_f32_e64 s4, 0xc2ce8ed0, v23
	v_fmac_f32_e32 v53, 0x32a5705f, v23
	s_delay_alu instid0(VALU_DEP_1) | instskip(NEXT) | instid1(VALU_DEP_1)
	v_dual_sub_f32 v21, v21, v6 :: v_dual_add_f32 v38, v38, v53
	v_cmp_ngt_f32_e64 s3, 0xc2ce8ed0, v21
	s_delay_alu instid0(VALU_DEP_2)
	v_exp_f32_e32 v38, v38
	s_waitcnt_depctr 0xfff
	v_ldexp_f32 v38, v38, v54
	s_waitcnt vmcnt(7)
	v_fmac_f32_e32 v7, v25, v9
	v_cndmask_b32_e64 v9, 0, v34, s0
	s_delay_alu instid0(VALU_DEP_1) | instskip(SKIP_1) | instid1(VALU_DEP_3)
	v_cndmask_b32_e32 v9, 0x7f800000, v9, vcc_lo
	s_waitcnt vmcnt(6)
	v_fmac_f32_e32 v7, v26, v11
	v_cmp_nlt_f32_e32 vcc_lo, 0x42b17218, v17
	s_delay_alu instid0(VALU_DEP_3) | instskip(SKIP_1) | instid1(VALU_DEP_3)
	v_dual_fmac_f32 v8, v9, v16 :: v_dual_mul_f32 v35, 0x3fb8aa3b, v17
	s_waitcnt vmcnt(5)
	v_fmac_f32_e32 v7, v27, v10
	s_delay_alu instid0(VALU_DEP_2) | instskip(SKIP_2) | instid1(VALU_DEP_3)
	v_fma_f32 v47, 0x3fb8aa3b, v17, -v35
	v_rndne_f32_e32 v48, v35
	v_cndmask_b32_e64 v10, 0, v36, s2
	v_fmac_f32_e32 v47, 0x32a5705f, v17
	s_delay_alu instid0(VALU_DEP_3) | instskip(SKIP_1) | instid1(VALU_DEP_2)
	v_sub_f32_e32 v35, v35, v48
	v_cvt_i32_f32_e32 v48, v48
	v_add_f32_e32 v35, v35, v47
	s_waitcnt vmcnt(4)
	v_fmac_f32_e32 v7, v28, v9
	s_delay_alu instid0(VALU_DEP_2) | instskip(SKIP_2) | instid1(VALU_DEP_1)
	v_exp_f32_e32 v35, v35
	s_waitcnt_depctr 0xfff
	v_ldexp_f32 v35, v35, v48
	v_cndmask_b32_e64 v11, 0, v35, s1
	s_delay_alu instid0(VALU_DEP_1) | instskip(SKIP_1) | instid1(VALU_DEP_2)
	v_cndmask_b32_e32 v11, 0x7f800000, v11, vcc_lo
	v_cmp_nlt_f32_e32 vcc_lo, 0x42b17218, v19
	v_fmac_f32_e32 v8, v11, v18
	v_cndmask_b32_e32 v10, 0x7f800000, v10, vcc_lo
	v_mul_f32_e32 v37, 0x3fb8aa3b, v21
	s_waitcnt vmcnt(3)
	v_fmac_f32_e32 v7, v29, v11
	v_cmp_nlt_f32_e32 vcc_lo, 0x42b17218, v21
	v_cndmask_b32_e64 v11, 0, v38, s4
	v_fmac_f32_e32 v8, v10, v20
	v_fma_f32 v51, 0x3fb8aa3b, v21, -v37
	v_rndne_f32_e32 v52, v37
	s_waitcnt vmcnt(2)
	v_fmac_f32_e32 v7, v30, v10
	s_delay_alu instid0(VALU_DEP_3) | instskip(NEXT) | instid1(VALU_DEP_3)
	v_fmac_f32_e32 v51, 0x32a5705f, v21
	v_sub_f32_e32 v37, v37, v52
	v_cvt_i32_f32_e32 v52, v52
	s_delay_alu instid0(VALU_DEP_2) | instskip(NEXT) | instid1(VALU_DEP_1)
	v_add_f32_e32 v37, v37, v51
	v_exp_f32_e32 v37, v37
	s_waitcnt_depctr 0xfff
	v_ldexp_f32 v37, v37, v52
	s_delay_alu instid0(VALU_DEP_1) | instskip(NEXT) | instid1(VALU_DEP_1)
	v_cndmask_b32_e64 v9, 0, v37, s3
	v_cndmask_b32_e32 v9, 0x7f800000, v9, vcc_lo
	v_cmp_nlt_f32_e32 vcc_lo, 0x42b17218, v23
	s_delay_alu instid0(VALU_DEP_2) | instskip(SKIP_3) | instid1(VALU_DEP_1)
	v_fmac_f32_e32 v8, v9, v22
	s_waitcnt vmcnt(1)
	v_dual_cndmask_b32 v10, 0x7f800000, v11 :: v_dual_fmac_f32 v7, v2, v9
	s_waitcnt vmcnt(0)
	v_dual_fmac_f32 v8, v10, v24 :: v_dual_fmac_f32 v7, v3, v10
	s_cbranch_scc0 .LBB4_14
; %bb.15:
	s_and_b32 s0, s11, 7
	s_delay_alu instid0(SALU_CYCLE_1)
	s_cmp_eq_u32 s0, 0
	s_cbranch_scc0 .LBB4_18
	s_branch .LBB4_20
.LBB4_16:
	v_mov_b32_e32 v0, 0x7fc00000
	s_branch .LBB4_21
.LBB4_17:
	v_mov_b32_e32 v8, 0
	s_mov_b32 s12, 0
	s_and_b32 s0, s11, 7
	s_delay_alu instid0(SALU_CYCLE_1)
	s_cmp_eq_u32 s0, 0
	s_cbranch_scc1 .LBB4_20
.LBB4_18:
	v_lshl_or_b32 v0, s12, 7, v0
	v_mov_b32_e32 v1, 0
	s_lshl_b32 s1, s12, 3
	s_delay_alu instid0(SALU_CYCLE_1)
	s_add_i32 s1, s1, 0
	s_set_inst_prefetch_distance 0x1
	.p2align	6
.LBB4_19:                               ; =>This Inner Loop Header: Depth=1
	s_delay_alu instid0(VALU_DEP_1) | instskip(SKIP_2) | instid1(VALU_DEP_2)
	v_lshlrev_b64 v[2:3], 2, v[0:1]
	s_add_i32 s0, s0, -1
	v_add_nc_u32_e32 v0, 0x80, v0
	v_add_co_u32 v2, vcc_lo, s6, v2
	s_delay_alu instid0(VALU_DEP_3)
	v_add_co_ci_u32_e32 v3, vcc_lo, s7, v3, vcc_lo
	global_load_b32 v4, v[2:3], off
	v_mov_b32_e32 v2, s1
	s_add_i32 s1, s1, 8
	s_cmp_lg_u32 s0, 0
	ds_load_b64 v[2:3], v2
	s_waitcnt lgkmcnt(0)
	v_sub_f32_e32 v2, v2, v6
	s_delay_alu instid0(VALU_DEP_1) | instskip(SKIP_1) | instid1(VALU_DEP_2)
	v_mul_f32_e32 v9, 0x3fb8aa3b, v2
	v_cmp_ngt_f32_e32 vcc_lo, 0xc2ce8ed0, v2
	v_fma_f32 v10, 0x3fb8aa3b, v2, -v9
	v_rndne_f32_e32 v11, v9
	s_delay_alu instid0(VALU_DEP_1) | instskip(NEXT) | instid1(VALU_DEP_1)
	v_dual_fmac_f32 v10, 0x32a5705f, v2 :: v_dual_sub_f32 v9, v9, v11
	v_add_f32_e32 v9, v9, v10
	v_cvt_i32_f32_e32 v10, v11
	s_delay_alu instid0(VALU_DEP_2) | instskip(SKIP_2) | instid1(VALU_DEP_1)
	v_exp_f32_e32 v9, v9
	s_waitcnt_depctr 0xfff
	v_ldexp_f32 v9, v9, v10
	v_cndmask_b32_e32 v9, 0, v9, vcc_lo
	v_cmp_nlt_f32_e32 vcc_lo, 0x42b17218, v2
	s_delay_alu instid0(VALU_DEP_2) | instskip(SKIP_1) | instid1(VALU_DEP_1)
	v_cndmask_b32_e32 v2, 0x7f800000, v9, vcc_lo
	s_waitcnt vmcnt(0)
	v_dual_fmac_f32 v8, v2, v3 :: v_dual_fmac_f32 v7, v4, v2
	s_cbranch_scc1 .LBB4_19
.LBB4_20:
	s_set_inst_prefetch_distance 0x2
	s_delay_alu instid0(VALU_DEP_1) | instskip(NEXT) | instid1(VALU_DEP_1)
	v_div_scale_f32 v0, null, v8, v8, v7
	v_rcp_f32_e32 v1, v0
	s_waitcnt_depctr 0xfff
	v_fma_f32 v2, -v0, v1, 1.0
	s_delay_alu instid0(VALU_DEP_1) | instskip(SKIP_1) | instid1(VALU_DEP_1)
	v_fmac_f32_e32 v1, v2, v1
	v_div_scale_f32 v2, vcc_lo, v7, v8, v7
	v_mul_f32_e32 v3, v2, v1
	s_delay_alu instid0(VALU_DEP_1) | instskip(NEXT) | instid1(VALU_DEP_1)
	v_fma_f32 v4, -v0, v3, v2
	v_fmac_f32_e32 v3, v4, v1
	s_delay_alu instid0(VALU_DEP_1) | instskip(NEXT) | instid1(VALU_DEP_1)
	v_fma_f32 v0, -v0, v3, v2
	v_div_fmas_f32 v0, v0, v1, v3
	s_delay_alu instid0(VALU_DEP_1)
	v_div_fixup_f32 v0, v0, v8, v7
.LBB4_21:
	s_lshl_b32 s0, s10, 7
	s_delay_alu instid0(SALU_CYCLE_1) | instskip(NEXT) | instid1(SALU_CYCLE_1)
	s_ashr_i32 s1, s0, 31
	s_lshl_b64 s[0:1], s[0:1], 2
	s_delay_alu instid0(SALU_CYCLE_1)
	s_add_u32 s0, s8, s0
	s_addc_u32 s1, s9, s1
	global_store_b32 v5, v0, s[0:1]
	s_nop 0
	s_sendmsg sendmsg(MSG_DEALLOC_VGPRS)
	s_endpgm
	.section	.rodata,"a",@progbits
	.p2align	6, 0x0
	.amdhsa_kernel _ZL26flash_attn_combine_resultsILi128EEvPKfPK15HIP_vector_typeIfLj2EEPfi
		.amdhsa_group_segment_fixed_size 0
		.amdhsa_private_segment_fixed_size 0
		.amdhsa_kernarg_size 288
		.amdhsa_user_sgpr_count 13
		.amdhsa_user_sgpr_dispatch_ptr 0
		.amdhsa_user_sgpr_queue_ptr 0
		.amdhsa_user_sgpr_kernarg_segment_ptr 1
		.amdhsa_user_sgpr_dispatch_id 0
		.amdhsa_user_sgpr_private_segment_size 0
		.amdhsa_wavefront_size32 1
		.amdhsa_uses_dynamic_stack 0
		.amdhsa_enable_private_segment 0
		.amdhsa_system_sgpr_workgroup_id_x 1
		.amdhsa_system_sgpr_workgroup_id_y 1
		.amdhsa_system_sgpr_workgroup_id_z 1
		.amdhsa_system_sgpr_workgroup_info 0
		.amdhsa_system_vgpr_workitem_id 0
		.amdhsa_next_free_vgpr 55
		.amdhsa_next_free_sgpr 16
		.amdhsa_reserve_vcc 1
		.amdhsa_float_round_mode_32 0
		.amdhsa_float_round_mode_16_64 0
		.amdhsa_float_denorm_mode_32 3
		.amdhsa_float_denorm_mode_16_64 3
		.amdhsa_dx10_clamp 1
		.amdhsa_ieee_mode 1
		.amdhsa_fp16_overflow 0
		.amdhsa_workgroup_processor_mode 1
		.amdhsa_memory_ordered 1
		.amdhsa_forward_progress 0
		.amdhsa_shared_vgpr_count 0
		.amdhsa_exception_fp_ieee_invalid_op 0
		.amdhsa_exception_fp_denorm_src 0
		.amdhsa_exception_fp_ieee_div_zero 0
		.amdhsa_exception_fp_ieee_overflow 0
		.amdhsa_exception_fp_ieee_underflow 0
		.amdhsa_exception_fp_ieee_inexact 0
		.amdhsa_exception_int_div_zero 0
	.end_amdhsa_kernel
	.section	.text._ZL26flash_attn_combine_resultsILi128EEvPKfPK15HIP_vector_typeIfLj2EEPfi,"axG",@progbits,_ZL26flash_attn_combine_resultsILi128EEvPKfPK15HIP_vector_typeIfLj2EEPfi,comdat
.Lfunc_end4:
	.size	_ZL26flash_attn_combine_resultsILi128EEvPKfPK15HIP_vector_typeIfLj2EEPfi, .Lfunc_end4-_ZL26flash_attn_combine_resultsILi128EEvPKfPK15HIP_vector_typeIfLj2EEPfi
                                        ; -- End function
	.section	.AMDGPU.csdata,"",@progbits
; Kernel info:
; codeLenInByte = 2352
; NumSgprs: 18
; NumVgprs: 55
; ScratchSize: 0
; MemoryBound: 0
; FloatMode: 240
; IeeeMode: 1
; LDSByteSize: 0 bytes/workgroup (compile time only)
; SGPRBlocks: 2
; VGPRBlocks: 6
; NumSGPRsForWavesPerEU: 18
; NumVGPRsForWavesPerEU: 55
; Occupancy: 16
; WaveLimiterHint : 0
; COMPUTE_PGM_RSRC2:SCRATCH_EN: 0
; COMPUTE_PGM_RSRC2:USER_SGPR: 13
; COMPUTE_PGM_RSRC2:TRAP_HANDLER: 0
; COMPUTE_PGM_RSRC2:TGID_X_EN: 1
; COMPUTE_PGM_RSRC2:TGID_Y_EN: 1
; COMPUTE_PGM_RSRC2:TGID_Z_EN: 1
; COMPUTE_PGM_RSRC2:TIDIG_COMP_CNT: 0
	.section	.text._ZL15flash_attn_tileILi192ELi128ELi1ELi16ELb0EEvPKcS1_S1_S1_S1_PKiPfP15HIP_vector_typeIfLj2EEffffjfiS5_IjLj3EEiiiiiiiiiiiliiliiiiil,"axG",@progbits,_ZL15flash_attn_tileILi192ELi128ELi1ELi16ELb0EEvPKcS1_S1_S1_S1_PKiPfP15HIP_vector_typeIfLj2EEffffjfiS5_IjLj3EEiiiiiiiiiiiliiliiiiil,comdat
	.globl	_ZL15flash_attn_tileILi192ELi128ELi1ELi16ELb0EEvPKcS1_S1_S1_S1_PKiPfP15HIP_vector_typeIfLj2EEffffjfiS5_IjLj3EEiiiiiiiiiiiliiliiiiil ; -- Begin function _ZL15flash_attn_tileILi192ELi128ELi1ELi16ELb0EEvPKcS1_S1_S1_S1_PKiPfP15HIP_vector_typeIfLj2EEffffjfiS5_IjLj3EEiiiiiiiiiiiliiliiiiil
	.p2align	8
	.type	_ZL15flash_attn_tileILi192ELi128ELi1ELi16ELb0EEvPKcS1_S1_S1_S1_PKiPfP15HIP_vector_typeIfLj2EEffffjfiS5_IjLj3EEiiiiiiiiiiiliiliiiiil,@function
_ZL15flash_attn_tileILi192ELi128ELi1ELi16ELb0EEvPKcS1_S1_S1_S1_PKiPfP15HIP_vector_typeIfLj2EEffffjfiS5_IjLj3EEiiiiiiiiiiiliiliiiiil: ; @_ZL15flash_attn_tileILi192ELi128ELi1ELi16ELb0EEvPKcS1_S1_S1_S1_PKiPfP15HIP_vector_typeIfLj2EEffffjfiS5_IjLj3EEiiiiiiiiiiiliiliiiiil
; %bb.0:
	s_clause 0x1
	s_load_b128 s[4:7], s[0:1], 0x5c
	s_load_b64 s[34:35], s[0:1], 0x80
	s_mov_b64 s[36:37], 0
	s_waitcnt lgkmcnt(0)
	s_ashr_i32 s2, s7, 31
	s_delay_alu instid0(SALU_CYCLE_1) | instskip(NEXT) | instid1(SALU_CYCLE_1)
	s_lshr_b32 s2, s2, 28
	s_add_i32 s2, s7, s2
	s_delay_alu instid0(SALU_CYCLE_1) | instskip(NEXT) | instid1(SALU_CYCLE_1)
	s_ashr_i32 s2, s2, 4
	v_cvt_f32_u32_e32 v1, s2
	s_sub_i32 s8, 0, s2
	s_delay_alu instid0(VALU_DEP_1) | instskip(SKIP_2) | instid1(VALU_DEP_1)
	v_rcp_iflag_f32_e32 v1, v1
	s_waitcnt_depctr 0xfff
	v_mul_f32_e32 v1, 0x4f7ffffe, v1
	v_cvt_u32_f32_e32 v1, v1
	s_delay_alu instid0(VALU_DEP_1) | instskip(NEXT) | instid1(VALU_DEP_1)
	v_readfirstlane_b32 s3, v1
	s_mul_i32 s8, s8, s3
	s_delay_alu instid0(SALU_CYCLE_1) | instskip(NEXT) | instid1(SALU_CYCLE_1)
	s_mul_hi_u32 s8, s3, s8
	s_add_i32 s3, s3, s8
	s_delay_alu instid0(SALU_CYCLE_1) | instskip(NEXT) | instid1(SALU_CYCLE_1)
	s_mul_hi_u32 s3, s15, s3
	s_mul_i32 s8, s3, s2
	s_add_i32 s9, s3, 1
	s_sub_i32 s8, s15, s8
	s_delay_alu instid0(SALU_CYCLE_1)
	s_sub_i32 s10, s8, s2
	s_cmp_ge_u32 s8, s2
	s_cselect_b32 s3, s9, s3
	s_cselect_b32 s8, s10, s8
	s_add_i32 s9, s3, 1
	s_cmp_ge_u32 s8, s2
	s_cselect_b32 s12, s9, s3
	s_abs_i32 s2, s35
	s_abs_i32 s11, s7
	v_cvt_f32_u32_e32 v1, s2
	s_sub_i32 s8, 0, s2
	s_lshl_b32 s9, s15, 4
	s_mul_i32 s10, s12, s7
	s_delay_alu instid0(VALU_DEP_1) | instskip(SKIP_3) | instid1(VALU_DEP_1)
	v_rcp_iflag_f32_e32 v1, v1
	s_sub_i32 s15, s9, s10
	s_waitcnt_depctr 0xfff
	v_mul_f32_e32 v1, 0x4f7ffffe, v1
	v_cvt_u32_f32_e32 v1, v1
	s_delay_alu instid0(VALU_DEP_1) | instskip(NEXT) | instid1(VALU_DEP_1)
	v_readfirstlane_b32 s3, v1
	s_mul_i32 s8, s8, s3
	s_delay_alu instid0(SALU_CYCLE_1) | instskip(NEXT) | instid1(SALU_CYCLE_1)
	s_mul_hi_u32 s8, s3, s8
	s_add_i32 s3, s3, s8
	s_xor_b32 s8, s7, s35
	s_mul_hi_u32 s3, s11, s3
	s_ashr_i32 s8, s8, 31
	s_mul_i32 s9, s3, s2
	s_add_i32 s10, s3, 1
	s_sub_i32 s9, s11, s9
	s_delay_alu instid0(SALU_CYCLE_1)
	s_sub_i32 s11, s9, s2
	s_cmp_ge_u32 s9, s2
	s_cselect_b32 s3, s10, s3
	s_cselect_b32 s9, s11, s9
	s_add_i32 s10, s3, 1
	s_cmp_ge_u32 s9, s2
	s_cselect_b32 s2, s10, s3
	s_delay_alu instid0(SALU_CYCLE_1) | instskip(NEXT) | instid1(SALU_CYCLE_1)
	s_xor_b32 s2, s2, s8
	s_sub_i32 s35, s2, s8
	s_clause 0x1
	s_load_b512 s[16:31], s[0:1], 0x0
	s_load_b64 s[2:3], s[0:1], 0xb8
	s_abs_i32 s33, s35
	s_delay_alu instid0(SALU_CYCLE_1) | instskip(NEXT) | instid1(VALU_DEP_1)
	v_cvt_f32_u32_e32 v1, s33
	v_rcp_iflag_f32_e32 v1, v1
	s_waitcnt_depctr 0xfff
	v_mul_f32_e32 v1, 0x4f7ffffe, v1
	s_waitcnt lgkmcnt(0)
	s_cmp_eq_u64 s[22:23], 0
	s_delay_alu instid0(VALU_DEP_1) | instskip(NEXT) | instid1(VALU_DEP_1)
	v_cvt_u32_f32_e32 v1, v1
	v_readfirstlane_b32 s38, v1
	s_cbranch_scc1 .LBB5_2
; %bb.1:
	s_abs_i32 s2, s2
	s_abs_i32 s10, s12
	v_cvt_f32_u32_e32 v1, s2
	s_sub_i32 s9, 0, s2
	s_delay_alu instid0(VALU_DEP_1) | instskip(SKIP_2) | instid1(VALU_DEP_1)
	v_rcp_iflag_f32_e32 v1, v1
	s_waitcnt_depctr 0xfff
	v_mul_f32_e32 v1, 0x4f7ffffe, v1
	v_cvt_u32_f32_e32 v1, v1
	s_delay_alu instid0(VALU_DEP_1) | instskip(NEXT) | instid1(VALU_DEP_1)
	v_readfirstlane_b32 s8, v1
	s_mul_i32 s9, s9, s8
	s_delay_alu instid0(SALU_CYCLE_1) | instskip(NEXT) | instid1(SALU_CYCLE_1)
	s_mul_hi_u32 s9, s8, s9
	s_add_i32 s11, s8, s9
	s_load_b64 s[8:9], s[0:1], 0xc8
	s_mul_hi_u32 s11, s10, s11
	s_delay_alu instid0(SALU_CYCLE_1) | instskip(NEXT) | instid1(SALU_CYCLE_1)
	s_mul_i32 s11, s11, s2
	s_sub_i32 s10, s10, s11
	s_ashr_i32 s11, s12, 31
	s_sub_i32 s36, s10, s2
	s_cmp_ge_u32 s10, s2
	s_cselect_b32 s10, s36, s10
	s_delay_alu instid0(SALU_CYCLE_1) | instskip(SKIP_2) | instid1(SALU_CYCLE_1)
	s_sub_i32 s36, s10, s2
	s_cmp_ge_u32 s10, s2
	s_cselect_b32 s2, s36, s10
	s_xor_b32 s2, s2, s11
	s_delay_alu instid0(SALU_CYCLE_1)
	s_sub_i32 s2, s2, s11
	s_waitcnt lgkmcnt(0)
	s_mul_i32 s9, s2, s9
	s_mul_hi_u32 s10, s2, s8
	s_ashr_i32 s11, s2, 31
	s_add_i32 s9, s10, s9
	s_mul_i32 s11, s11, s8
	s_mul_i32 s2, s2, s8
	s_add_i32 s9, s9, s11
	s_add_u32 s36, s22, s2
	s_addc_u32 s37, s23, s9
.LBB5_2:
	v_bfe_u32 v4, v0, 10, 10
	s_load_b128 s[8:11], s[0:1], 0x70
	s_delay_alu instid0(VALU_DEP_1) | instskip(SKIP_2) | instid1(VALU_DEP_3)
	v_lshrrev_b32_e32 v1, 3, v4
	v_lshlrev_b32_e32 v5, 1, v4
	v_mul_u32_u24_e32 v16, 0xc0, v4
	v_add_nc_u32_e32 v1, s13, v1
	s_delay_alu instid0(VALU_DEP_1) | instskip(SKIP_3) | instid1(VALU_DEP_1)
	v_mul_hi_u32 v2, s4, v1
	s_waitcnt lgkmcnt(0)
	s_mul_i32 s2, s12, s10
	s_mul_i32 s4, s15, s9
	v_add_nc_u32_e32 v2, v1, v2
	s_delay_alu instid0(VALU_DEP_1)
	v_lshrrev_b32_e32 v2, s5, v2
	s_ashr_i32 s5, s2, 31
	s_add_u32 s2, s16, s2
	s_addc_u32 s5, s17, s5
	s_ashr_i32 s10, s4, 31
	v_mul_lo_u32 v2, v2, s6
	s_add_u32 s2, s2, s4
	s_addc_u32 s4, s5, s10
	s_ashr_i32 s10, s8, 31
	s_ashr_i32 s5, s9, 31
	v_alignbit_b32 v7, s10, s8, 2
	v_alignbit_b32 v10, s5, s9, 2
	s_lshr_b32 s8, s10, 2
	v_sub_nc_u32_e32 v6, v1, v2
	s_delay_alu instid0(VALU_DEP_1) | instskip(SKIP_1) | instid1(VALU_DEP_1)
	v_mad_u64_u32 v[2:3], null, v7, v6, 0
	v_and_b32_e32 v7, 14, v5
	v_mad_u64_u32 v[8:9], null, v10, v7, 0
	s_delay_alu instid0(VALU_DEP_3) | instskip(SKIP_1) | instid1(VALU_DEP_1)
	v_mad_u64_u32 v[10:11], null, s8, v6, v[3:4]
	s_lshr_b32 s8, s5, 2
	v_mov_b32_e32 v3, v10
	s_delay_alu instid0(VALU_DEP_3) | instskip(SKIP_2) | instid1(VALU_DEP_3)
	v_mad_u64_u32 v[10:11], null, s8, v7, v[9:10]
	v_and_b32_e32 v0, 0x3ff, v0
	s_load_b32 s8, s[0:1], 0x40
	v_lshlrev_b64 v[2:3], 2, v[2:3]
	s_delay_alu instid0(VALU_DEP_3) | instskip(NEXT) | instid1(VALU_DEP_3)
	v_mov_b32_e32 v9, v10
	v_lshlrev_b32_e32 v11, 4, v0
	s_delay_alu instid0(VALU_DEP_3) | instskip(NEXT) | instid1(VALU_DEP_4)
	v_add_co_u32 v10, vcc_lo, s2, v2
	v_add_co_ci_u32_e32 v12, vcc_lo, s4, v3, vcc_lo
	s_delay_alu instid0(VALU_DEP_4) | instskip(NEXT) | instid1(VALU_DEP_3)
	v_lshlrev_b64 v[2:3], 2, v[8:9]
	v_add_co_u32 v8, vcc_lo, v10, v11
	s_delay_alu instid0(VALU_DEP_3) | instskip(SKIP_1) | instid1(VALU_DEP_3)
	v_add_co_ci_u32_e32 v9, vcc_lo, 0, v12, vcc_lo
	v_lshlrev_b32_e32 v31, 1, v0
	v_add_co_u32 v2, vcc_lo, v8, v2
	s_delay_alu instid0(VALU_DEP_3)
	v_add_co_ci_u32_e32 v3, vcc_lo, v9, v3, vcc_lo
	v_cmp_gt_u32_e32 vcc_lo, 16, v0
	s_mov_b32 s4, s9
	global_load_b128 v[10:13], v[2:3], off
	s_lshr_b64 s[4:5], s[4:5], 2
	s_waitcnt vmcnt(0) lgkmcnt(0)
	v_fma_mixlo_f16 v15, v12, s8, 0
	v_fma_mixlo_f16 v14, v10, s8, 0
	v_add_lshl_u32 v10, v16, v31, 2
	s_delay_alu instid0(VALU_DEP_3) | instskip(NEXT) | instid1(VALU_DEP_3)
	v_fma_mixhi_f16 v15, v13, s8, 0
	v_fma_mixhi_f16 v14, v11, s8, 0
	ds_store_b64 v10, v[14:15]
	s_and_saveexec_b32 s2, vcc_lo
	s_cbranch_execz .LBB5_4
; %bb.3:
	global_load_b128 v[11:14], v[2:3], off offset:512
	s_waitcnt vmcnt(0)
	v_fma_mixlo_f16 v3, v13, s8, 0
	v_fma_mixlo_f16 v2, v11, s8, 0
	s_delay_alu instid0(VALU_DEP_2) | instskip(NEXT) | instid1(VALU_DEP_2)
	v_fma_mixhi_f16 v3, v14, s8, 0
	v_fma_mixhi_f16 v2, v12, s8, 0
	ds_store_b64 v10, v[2:3] offset:256
.LBB5_4:
	s_or_b32 exec_lo, exec_lo, s2
	v_or_b32_e32 v12, 1, v5
	s_delay_alu instid0(VALU_DEP_1) | instskip(SKIP_1) | instid1(VALU_DEP_2)
	v_and_b32_e32 v13, 15, v12
	v_mul_u32_u24_e32 v14, 0x60, v12
	v_mad_u64_u32 v[2:3], null, s4, v13, 0
	s_delay_alu instid0(VALU_DEP_1) | instskip(NEXT) | instid1(VALU_DEP_1)
	v_mad_u64_u32 v[10:11], null, s5, v13, v[3:4]
	v_mov_b32_e32 v3, v10
	s_delay_alu instid0(VALU_DEP_1) | instskip(NEXT) | instid1(VALU_DEP_1)
	v_lshlrev_b64 v[2:3], 2, v[2:3]
	v_add_co_u32 v2, s2, v8, v2
	s_delay_alu instid0(VALU_DEP_1)
	v_add_co_ci_u32_e64 v3, s2, v9, v3, s2
	global_load_b128 v[8:11], v[2:3], off
	s_waitcnt vmcnt(0)
	v_fma_mixlo_f16 v13, v10, s8, 0
	v_fma_mixlo_f16 v12, v8, s8, 0
	v_add_lshl_u32 v8, v14, v31, 2
	s_delay_alu instid0(VALU_DEP_3) | instskip(NEXT) | instid1(VALU_DEP_3)
	v_fma_mixhi_f16 v13, v11, s8, 0
	v_fma_mixhi_f16 v12, v9, s8, 0
	ds_store_b64 v8, v[12:13]
	s_and_saveexec_b32 s2, vcc_lo
	s_cbranch_execz .LBB5_6
; %bb.5:
	global_load_b128 v[9:12], v[2:3], off offset:512
	s_waitcnt vmcnt(0)
	v_fma_mixlo_f16 v3, v11, s8, 0
	v_fma_mixlo_f16 v2, v9, s8, 0
	s_delay_alu instid0(VALU_DEP_2) | instskip(NEXT) | instid1(VALU_DEP_2)
	v_fma_mixhi_f16 v3, v12, s8, 0
	v_fma_mixhi_f16 v2, v10, s8, 0
	ds_store_b64 v8, v[2:3] offset:256
.LBB5_6:
	s_or_b32 exec_lo, exec_lo, s2
	s_cmp_eq_u64 s[26:27], 0
	s_waitcnt lgkmcnt(0)
	s_barrier
	buffer_gl0_inv
	s_cbranch_scc1 .LBB5_8
; %bb.7:
	s_load_b32 s2, s[0:1], 0xd0
	s_mov_b32 s5, 0
	s_waitcnt lgkmcnt(0)
	s_mul_i32 s2, s2, s12
	s_delay_alu instid0(SALU_CYCLE_1) | instskip(NEXT) | instid1(SALU_CYCLE_1)
	s_add_i32 s4, s2, s13
	s_lshl_b64 s[4:5], s[4:5], 2
	s_delay_alu instid0(SALU_CYCLE_1)
	s_add_u32 s4, s26, s4
	s_addc_u32 s5, s27, s5
	s_load_b32 s34, s[4:5], 0x0
.LBB5_8:
	v_mbcnt_lo_u32_b32 v8, -1, 0
	s_lshl_b32 s13, s14, 5
	s_waitcnt lgkmcnt(0)
	s_cmp_lt_i32 s13, s34
	s_cbranch_scc1 .LBB5_10
; %bb.9:
	v_mbcnt_lo_u32_b32 v21, -1, 0
	v_mov_b32_e32 v9, 32
	s_mov_b32 s2, 0
	s_mov_b32 s4, 0xfeffffff
	s_delay_alu instid0(VALU_DEP_2)
	v_xor_b32_e32 v19, 16, v21
	v_xor_b32_e32 v18, 8, v21
	v_xor_b32_e32 v17, 4, v21
	v_xor_b32_e32 v16, 2, v21
	v_xor_b32_e32 v15, 1, v21
	s_branch .LBB5_11
.LBB5_10:
	s_mov_b32 s2, -1
                                        ; implicit-def: $sgpr4
                                        ; implicit-def: $vgpr21
                                        ; implicit-def: $vgpr9
                                        ; implicit-def: $vgpr19
                                        ; implicit-def: $vgpr18
                                        ; implicit-def: $vgpr17
                                        ; implicit-def: $vgpr16
                                        ; implicit-def: $vgpr15
.LBB5_11:
	s_delay_alu instid0(SALU_CYCLE_1) | instskip(SKIP_3) | instid1(VALU_DEP_4)
	v_cndmask_b32_e64 v2, 0, 1, s2
	v_dual_mov_b32 v3, s4 :: v_dual_lshlrev_b32 v10, 2, v0
	v_mov_b32_e32 v33, s2
	v_dual_mov_b32 v13, s2 :: v_dual_mov_b32 v20, s2
	v_cmp_ne_u32_e32 vcc_lo, 1, v2
	v_mov_b32_e32 v2, s4
	v_dual_mov_b32 v14, s2 :: v_dual_mov_b32 v11, s2
	v_mov_b32_e32 v12, s2
	s_cbranch_vccnz .LBB5_15
; %bb.12:
	s_clause 0x1
	s_load_b128 s[8:11], s[0:1], 0x98
	s_load_b64 s[4:5], s[0:1], 0x8c
	s_sub_i32 s2, 0, s33
	v_lshrrev_b32_e32 v2, 3, v0
	s_mul_i32 s2, s2, s38
	s_abs_i32 s22, s15
	s_mul_hi_u32 s2, s38, s2
	s_ashr_i32 s26, s35, 31
	s_add_i32 s38, s38, s2
	s_ashr_i32 s2, s3, 1
	s_ashr_i32 s35, s12, 31
	s_mul_hi_u32 s27, s22, s38
	v_lshl_add_u32 v9, v4, 2, v2
	s_ashr_i32 s23, s15, 31
	s_mul_i32 s38, s27, s33
	s_load_b64 s[16:17], s[0:1], 0xa8
	v_lshrrev_b32_e32 v11, 4, v0
	v_and_b32_e32 v12, 28, v10
	v_lshl_add_u32 v26, v4, 7, 0x2a00
	v_mul_u32_u24_e32 v25, 0x300, v4
	s_waitcnt lgkmcnt(0)
	s_ashr_i32 s3, s10, 2
	s_ashr_i32 s10, s4, 2
	s_mul_i32 s4, s12, s9
	s_mul_hi_u32 s9, s12, s8
	s_mul_i32 s39, s35, s8
	s_add_i32 s4, s9, s4
	s_mul_i32 s8, s12, s8
	s_add_i32 s4, s4, s39
	s_add_u32 s8, s18, s8
	s_addc_u32 s4, s19, s4
	s_sub_i32 s18, s22, s38
	s_xor_b32 s9, s23, s26
	s_add_i32 s19, s27, 1
	s_sub_i32 s22, s18, s33
	v_mul_lo_u32 v2, s10, v9
	s_cmp_ge_u32 s18, s33
	v_add_nc_u32_e32 v13, v5, v11
	s_cselect_b32 s19, s19, s27
	s_cselect_b32 s18, s22, s18
	s_add_i32 s22, s19, 1
	s_cmp_ge_u32 s18, s33
	v_mul_lo_u32 v11, s3, v13
	s_cselect_b32 s18, s22, s19
	v_ashrrev_i32_e32 v3, 31, v2
	s_xor_b32 s18, s18, s9
	v_mul_u32_u24_e32 v5, 0x90, v9
	s_sub_i32 s9, s18, s9
	v_dual_mov_b32 v20, 0 :: v_dual_lshlrev_b32 v9, 2, v12
	v_lshlrev_b64 v[2:3], 2, v[2:3]
	s_mul_i32 s5, s9, s5
	v_ashrrev_i32_e32 v12, 31, v11
	s_ashr_i32 s18, s5, 31
	s_add_u32 s5, s8, s5
	s_addc_u32 s4, s4, s18
	v_add_co_u32 v2, vcc_lo, s5, v2
	v_add_co_ci_u32_e32 v3, vcc_lo, s4, v3, vcc_lo
	s_mul_i32 s17, s12, s17
	s_delay_alu instid0(VALU_DEP_2)
	v_add_co_u32 v22, vcc_lo, v2, v9
	v_and_b32_e32 v2, 60, v10
	s_mul_hi_u32 s19, s12, s16
	s_mul_i32 s35, s35, s16
	s_add_i32 s8, s19, s17
	s_mul_i32 s16, s12, s16
	v_add3_u32 v21, v5, v9, 0x1800
	v_add_co_ci_u32_e32 v23, vcc_lo, 0, v3, vcc_lo
	v_lshlrev_b32_e32 v9, 2, v2
	v_lshlrev_b64 v[2:3], 2, v[11:12]
	v_mov_b32_e32 v12, 0
	s_add_i32 s8, s8, s35
	s_mul_i32 s9, s9, s11
	s_add_u32 s16, s20, s16
	s_addc_u32 s8, s21, s8
	s_ashr_i32 s11, s9, 31
	s_add_u32 s9, s16, s9
	s_addc_u32 s8, s8, s11
	v_add_co_u32 v2, vcc_lo, s9, v2
	v_mad_u64_u32 v[4:5], null, v6, s2, v[0:1]
	v_add_co_ci_u32_e32 v3, vcc_lo, s8, v3, vcc_lo
	v_lshl_add_u32 v27, v31, 1, v26
	s_delay_alu instid0(VALU_DEP_4)
	v_add_co_u32 v29, vcc_lo, v2, v9
	v_lshl_add_u32 v31, v31, 2, 0x1800
	v_mov_b32_e32 v2, 0xfeffffff
	v_lshl_or_b32 v5, v13, 8, v9
	s_movk_i32 s11, 0x1800
	v_add_co_ci_u32_e32 v30, vcc_lo, 0, v3, vcc_lo
	v_mad_u32_u24 v24, 0x90, v0, s11
	s_delay_alu instid0(VALU_DEP_3)
	v_dual_mov_b32 v13, 0 :: v_dual_add_nc_u32 v28, 0x1800, v5
	v_mov_b32_e32 v11, 0
	v_mov_b32_e32 v9, 32
	v_xor_b32_e32 v19, 16, v8
	v_xor_b32_e32 v18, 8, v8
	;; [unrolled: 1-line block ×5, first 2 shown]
	v_dual_mov_b32 v33, 0 :: v_dual_add_nc_u32 v32, 0x800, v31
	v_dual_mov_b32 v14, 0 :: v_dual_mov_b32 v3, 0xfeffffff
	s_add_u32 s4, s0, 0xd0
	s_addc_u32 s5, s1, 0
.LBB5_13:                               ; =>This Inner Loop Header: Depth=1
	s_mul_hi_i32 s9, s13, s10
	s_mul_i32 s8, s13, s10
	v_dual_mov_b32 v34, 0 :: v_dual_mov_b32 v35, 0
	s_lshl_b64 s[8:9], s[8:9], 2
	s_or_b32 s2, s13, 16
	v_add_co_u32 v5, vcc_lo, v22, s8
	v_add_co_ci_u32_e32 v6, vcc_lo, s9, v23, vcc_lo
	s_mul_hi_i32 s9, s13, s3
	s_mul_i32 s8, s13, s3
	v_mov_b32_e32 v86, v3
	global_load_b128 v[36:39], v[5:6], off
	s_lshl_b64 s[8:9], s[8:9], 2
	s_waitcnt vmcnt(0)
	ds_store_b128 v21, v[36:39]
	s_waitcnt lgkmcnt(0)
	s_barrier
	buffer_gl0_inv
	ds_load_b128 v[36:39], v24
	ds_load_b128 v[40:43], v25
	ds_load_b128 v[44:47], v25 offset:384
	s_waitcnt lgkmcnt(1)
	;;#ASMSTART
	v_dot2_f32_f16 v34, v36, v40, v34
	;;#ASMEND
	;;#ASMSTART
	v_dot2_f32_f16 v34, v37, v41, v34
	;;#ASMEND
	;;#ASMSTART
	v_dot2_f32_f16 v34, v38, v42, v34
	;;#ASMEND
	;;#ASMSTART
	v_dot2_f32_f16 v34, v39, v43, v34
	;;#ASMEND
	s_waitcnt lgkmcnt(0)
	;;#ASMSTART
	v_dot2_f32_f16 v35, v36, v44, v35
	;;#ASMEND
	;;#ASMSTART
	v_dot2_f32_f16 v35, v37, v45, v35
	;;#ASMEND
	;;#ASMSTART
	v_dot2_f32_f16 v35, v38, v46, v35
	;;#ASMEND
	;;#ASMSTART
	v_dot2_f32_f16 v35, v39, v47, v35
	;;#ASMEND
	ds_load_b128 v[36:39], v24 offset:16
	ds_load_b128 v[40:43], v25 offset:16
	ds_load_b128 v[44:47], v25 offset:400
	s_waitcnt lgkmcnt(1)
	;;#ASMSTART
	v_dot2_f32_f16 v34, v36, v40, v34
	;;#ASMEND
	;;#ASMSTART
	v_dot2_f32_f16 v34, v37, v41, v34
	;;#ASMEND
	;;#ASMSTART
	v_dot2_f32_f16 v34, v38, v42, v34
	;;#ASMEND
	;;#ASMSTART
	v_dot2_f32_f16 v34, v39, v43, v34
	;;#ASMEND
	s_waitcnt lgkmcnt(0)
	;;#ASMSTART
	v_dot2_f32_f16 v35, v36, v44, v35
	;;#ASMEND
	;;#ASMSTART
	v_dot2_f32_f16 v35, v37, v45, v35
	;;#ASMEND
	;;#ASMSTART
	v_dot2_f32_f16 v35, v38, v46, v35
	;;#ASMEND
	;;#ASMSTART
	v_dot2_f32_f16 v35, v39, v47, v35
	;;#ASMEND
	ds_load_b128 v[36:39], v24 offset:32
	ds_load_b128 v[40:43], v25 offset:32
	;; [unrolled: 29-line block ×7, first 2 shown]
	ds_load_b128 v[44:47], v25 offset:496
	s_waitcnt lgkmcnt(1)
	;;#ASMSTART
	v_dot2_f32_f16 v34, v36, v40, v34
	;;#ASMEND
	;;#ASMSTART
	v_dot2_f32_f16 v34, v37, v41, v34
	;;#ASMEND
	;; [unrolled: 3-line block ×4, first 2 shown]
	s_waitcnt lgkmcnt(0)
	;;#ASMSTART
	v_dot2_f32_f16 v35, v36, v44, v35
	;;#ASMEND
	;;#ASMSTART
	v_dot2_f32_f16 v35, v37, v45, v35
	;;#ASMEND
	;; [unrolled: 3-line block ×4, first 2 shown]
	s_barrier
	buffer_gl0_inv
	global_load_b128 v[36:39], v[5:6], off offset:128
	s_waitcnt vmcnt(0)
	ds_store_b128 v21, v[36:39]
	s_waitcnt lgkmcnt(0)
	s_barrier
	buffer_gl0_inv
	ds_load_b128 v[36:39], v24
	ds_load_b128 v[40:43], v25 offset:128
	ds_load_b128 v[44:47], v25 offset:512
	s_waitcnt lgkmcnt(1)
	;;#ASMSTART
	v_dot2_f32_f16 v34, v36, v40, v34
	;;#ASMEND
	;;#ASMSTART
	v_dot2_f32_f16 v34, v37, v41, v34
	;;#ASMEND
	;;#ASMSTART
	v_dot2_f32_f16 v34, v38, v42, v34
	;;#ASMEND
	;;#ASMSTART
	v_dot2_f32_f16 v34, v39, v43, v34
	;;#ASMEND
	s_waitcnt lgkmcnt(0)
	;;#ASMSTART
	v_dot2_f32_f16 v35, v36, v44, v35
	;;#ASMEND
	;;#ASMSTART
	v_dot2_f32_f16 v35, v37, v45, v35
	;;#ASMEND
	;;#ASMSTART
	v_dot2_f32_f16 v35, v38, v46, v35
	;;#ASMEND
	;;#ASMSTART
	v_dot2_f32_f16 v35, v39, v47, v35
	;;#ASMEND
	ds_load_b128 v[36:39], v24 offset:16
	ds_load_b128 v[40:43], v25 offset:144
	ds_load_b128 v[44:47], v25 offset:528
	s_waitcnt lgkmcnt(1)
	;;#ASMSTART
	v_dot2_f32_f16 v34, v36, v40, v34
	;;#ASMEND
	;;#ASMSTART
	v_dot2_f32_f16 v34, v37, v41, v34
	;;#ASMEND
	;;#ASMSTART
	v_dot2_f32_f16 v34, v38, v42, v34
	;;#ASMEND
	;;#ASMSTART
	v_dot2_f32_f16 v34, v39, v43, v34
	;;#ASMEND
	s_waitcnt lgkmcnt(0)
	;;#ASMSTART
	v_dot2_f32_f16 v35, v36, v44, v35
	;;#ASMEND
	;;#ASMSTART
	v_dot2_f32_f16 v35, v37, v45, v35
	;;#ASMEND
	;;#ASMSTART
	v_dot2_f32_f16 v35, v38, v46, v35
	;;#ASMEND
	;;#ASMSTART
	v_dot2_f32_f16 v35, v39, v47, v35
	;;#ASMEND
	ds_load_b128 v[36:39], v24 offset:32
	;; [unrolled: 29-line block ×7, first 2 shown]
	ds_load_b128 v[40:43], v25 offset:240
	ds_load_b128 v[44:47], v25 offset:624
	s_waitcnt lgkmcnt(1)
	;;#ASMSTART
	v_dot2_f32_f16 v34, v36, v40, v34
	;;#ASMEND
	;;#ASMSTART
	v_dot2_f32_f16 v34, v37, v41, v34
	;;#ASMEND
	;; [unrolled: 3-line block ×4, first 2 shown]
	s_waitcnt lgkmcnt(0)
	;;#ASMSTART
	v_dot2_f32_f16 v35, v36, v44, v35
	;;#ASMEND
	;;#ASMSTART
	v_dot2_f32_f16 v35, v37, v45, v35
	;;#ASMEND
	;; [unrolled: 3-line block ×4, first 2 shown]
	s_barrier
	buffer_gl0_inv
	global_load_b128 v[36:39], v[5:6], off offset:256
	v_add_nc_u32_e32 v5, s13, v4
	s_delay_alu instid0(VALU_DEP_1) | instskip(NEXT) | instid1(VALU_DEP_1)
	v_ashrrev_i32_e32 v6, 31, v5
	v_lshlrev_b64 v[5:6], 1, v[5:6]
	s_delay_alu instid0(VALU_DEP_1) | instskip(NEXT) | instid1(VALU_DEP_2)
	v_add_co_u32 v5, vcc_lo, s36, v5
	v_add_co_ci_u32_e32 v6, vcc_lo, s37, v6, vcc_lo
	s_waitcnt vmcnt(0)
	ds_store_b128 v21, v[36:39]
	s_waitcnt lgkmcnt(0)
	s_barrier
	buffer_gl0_inv
	ds_load_b128 v[36:39], v24
	ds_load_b128 v[40:43], v25 offset:256
	ds_load_b128 v[44:47], v25 offset:640
	s_waitcnt lgkmcnt(1)
	;;#ASMSTART
	v_dot2_f32_f16 v34, v36, v40, v34
	;;#ASMEND
	;;#ASMSTART
	v_dot2_f32_f16 v34, v37, v41, v34
	;;#ASMEND
	;;#ASMSTART
	v_dot2_f32_f16 v34, v38, v42, v34
	;;#ASMEND
	;;#ASMSTART
	v_dot2_f32_f16 v34, v39, v43, v34
	;;#ASMEND
	s_waitcnt lgkmcnt(0)
	;;#ASMSTART
	v_dot2_f32_f16 v35, v36, v44, v35
	;;#ASMEND
	;;#ASMSTART
	v_dot2_f32_f16 v35, v37, v45, v35
	;;#ASMEND
	;;#ASMSTART
	v_dot2_f32_f16 v35, v38, v46, v35
	;;#ASMEND
	;;#ASMSTART
	v_dot2_f32_f16 v35, v39, v47, v35
	;;#ASMEND
	ds_load_b128 v[36:39], v24 offset:16
	ds_load_b128 v[40:43], v25 offset:272
	ds_load_b128 v[44:47], v25 offset:656
	s_waitcnt lgkmcnt(1)
	;;#ASMSTART
	v_dot2_f32_f16 v34, v36, v40, v34
	;;#ASMEND
	;;#ASMSTART
	v_dot2_f32_f16 v34, v37, v41, v34
	;;#ASMEND
	;;#ASMSTART
	v_dot2_f32_f16 v34, v38, v42, v34
	;;#ASMEND
	;;#ASMSTART
	v_dot2_f32_f16 v34, v39, v43, v34
	;;#ASMEND
	s_waitcnt lgkmcnt(0)
	;;#ASMSTART
	v_dot2_f32_f16 v35, v36, v44, v35
	;;#ASMEND
	;;#ASMSTART
	v_dot2_f32_f16 v35, v37, v45, v35
	;;#ASMEND
	;;#ASMSTART
	v_dot2_f32_f16 v35, v38, v46, v35
	;;#ASMEND
	;;#ASMSTART
	v_dot2_f32_f16 v35, v39, v47, v35
	;;#ASMEND
	ds_load_b128 v[36:39], v24 offset:32
	;; [unrolled: 29-line block ×7, first 2 shown]
	ds_load_b128 v[40:43], v25 offset:368
	ds_load_b128 v[44:47], v25 offset:752
	s_waitcnt lgkmcnt(1)
	;;#ASMSTART
	v_dot2_f32_f16 v34, v36, v40, v34
	;;#ASMEND
	;;#ASMSTART
	v_dot2_f32_f16 v34, v37, v41, v34
	;;#ASMEND
	;; [unrolled: 3-line block ×4, first 2 shown]
	s_waitcnt lgkmcnt(0)
	;;#ASMSTART
	v_dot2_f32_f16 v35, v36, v44, v35
	;;#ASMEND
	;;#ASMSTART
	v_dot2_f32_f16 v35, v37, v45, v35
	;;#ASMEND
	;;#ASMSTART
	v_dot2_f32_f16 v35, v38, v46, v35
	;;#ASMEND
	;;#ASMSTART
	v_dot2_f32_f16 v35, v39, v47, v35
	;;#ASMEND
	flat_load_u16 v40, v[5:6]
	v_add_co_u32 v5, vcc_lo, v29, s8
	v_add_co_ci_u32_e32 v6, vcc_lo, s9, v30, vcc_lo
	v_cmp_gt_i32_e32 vcc_lo, 32, v19
	v_mov_b32_e32 v87, v2
	s_waitcnt vmcnt(0) lgkmcnt(0)
	s_barrier
	buffer_gl0_inv
	v_cndmask_b32_e32 v2, v8, v19, vcc_lo
	v_cmp_gt_i32_e32 vcc_lo, 32, v18
	global_load_b128 v[36:39], v[5:6], off
	v_max_f32_e32 v44, v86, v86
	s_mul_hi_i32 s9, s2, s3
	v_lshlrev_b32_e32 v2, 2, v2
	v_cndmask_b32_e32 v3, v8, v18, vcc_lo
	v_cmp_gt_i32_e32 vcc_lo, 32, v17
	s_mul_i32 s8, s2, s3
	s_delay_alu instid0(SALU_CYCLE_1) | instskip(SKIP_2) | instid1(VALU_DEP_2)
	s_lshl_b64 s[8:9], s[8:9], 2
	v_cndmask_b32_e32 v5, v8, v17, vcc_lo
	v_cmp_gt_i32_e32 vcc_lo, 32, v16
	v_lshlrev_b32_e32 v42, 2, v5
	v_dual_cndmask_b32 v6, v8, v16 :: v_dual_lshlrev_b32 v3, 2, v3
	v_cmp_gt_i32_e32 vcc_lo, 32, v15
	v_cndmask_b32_e32 v41, v8, v15, vcc_lo
	v_add_co_u32 v5, vcc_lo, v29, s8
	v_cvt_f32_f16_e32 v40, v40
	v_lshlrev_b32_e32 v43, 2, v6
	v_add_co_ci_u32_e32 v6, vcc_lo, s9, v30, vcc_lo
	s_delay_alu instid0(VALU_DEP_3) | instskip(NEXT) | instid1(VALU_DEP_1)
	v_dual_add_f32 v34, v34, v40 :: v_dual_max_f32 v45, v87, v87
	v_dual_add_f32 v46, 0x40051340, v34 :: v_dual_add_f32 v35, v35, v40
	s_delay_alu instid0(VALU_DEP_1) | instskip(NEXT) | instid1(VALU_DEP_1)
	v_dual_add_f32 v40, 0x40051340, v35 :: v_dual_lshlrev_b32 v41, 2, v41
	v_max_f32_e32 v40, v44, v40
	s_delay_alu instid0(VALU_DEP_3) | instskip(SKIP_4) | instid1(VALU_DEP_1)
	v_max_f32_e32 v44, v45, v46
	ds_bpermute_b32 v45, v2, v40
	ds_bpermute_b32 v2, v2, v44
	s_waitcnt lgkmcnt(0)
	v_dual_max_f32 v45, v45, v45 :: v_dual_max_f32 v2, v2, v2
	v_max_f32_e32 v40, v40, v45
	s_delay_alu instid0(VALU_DEP_2) | instskip(SKIP_4) | instid1(VALU_DEP_1)
	v_max_f32_e32 v2, v44, v2
	ds_bpermute_b32 v44, v3, v40
	ds_bpermute_b32 v3, v3, v2
	s_waitcnt lgkmcnt(0)
	v_dual_max_f32 v44, v44, v44 :: v_dual_max_f32 v3, v3, v3
	v_max_f32_e32 v40, v40, v44
	s_delay_alu instid0(VALU_DEP_2) | instskip(SKIP_3) | instid1(VALU_DEP_1)
	v_max_f32_e32 v2, v2, v3
	ds_bpermute_b32 v3, v42, v40
	s_waitcnt lgkmcnt(0)
	v_max_f32_e32 v3, v3, v3
	v_max_f32_e32 v3, v40, v3
	ds_bpermute_b32 v40, v43, v3
	s_waitcnt lgkmcnt(0)
	v_max_f32_e32 v40, v40, v40
	s_delay_alu instid0(VALU_DEP_1) | instskip(SKIP_3) | instid1(VALU_DEP_1)
	v_max_f32_e32 v3, v3, v40
	ds_bpermute_b32 v40, v41, v3
	s_waitcnt lgkmcnt(0)
	v_max_f32_e32 v40, v40, v40
	v_max_f32_e32 v3, v3, v40
	ds_bpermute_b32 v42, v42, v2
	v_sub_f32_e32 v35, v35, v3
	s_delay_alu instid0(VALU_DEP_1) | instskip(SKIP_2) | instid1(VALU_DEP_1)
	v_cmp_ngt_f32_e64 s2, 0xc2ce8ed0, v35
	s_waitcnt lgkmcnt(0)
	v_max_f32_e32 v42, v42, v42
	v_max_f32_e32 v2, v2, v42
	ds_bpermute_b32 v42, v43, v2
	s_waitcnt lgkmcnt(0)
	v_max_f32_e32 v42, v42, v42
	s_delay_alu instid0(VALU_DEP_1) | instskip(SKIP_3) | instid1(VALU_DEP_1)
	v_max_f32_e32 v2, v2, v42
	ds_bpermute_b32 v41, v41, v2
	s_waitcnt lgkmcnt(0)
	v_max_f32_e32 v41, v41, v41
	v_max_f32_e32 v2, v2, v41
	v_mul_f32_e32 v40, 0x3fb8aa3b, v35
	s_delay_alu instid0(VALU_DEP_2) | instskip(NEXT) | instid1(VALU_DEP_2)
	v_sub_f32_e32 v34, v34, v2
	v_fma_f32 v42, 0x3fb8aa3b, v35, -v40
	v_rndne_f32_e32 v43, v40
	s_delay_alu instid0(VALU_DEP_3) | instskip(NEXT) | instid1(VALU_DEP_3)
	v_mul_f32_e32 v41, 0x3fb8aa3b, v34
	v_fmac_f32_e32 v42, 0x32a5705f, v35
	s_delay_alu instid0(VALU_DEP_3)
	v_sub_f32_e32 v40, v40, v43
	v_cvt_i32_f32_e32 v43, v43
	v_cmp_ngt_f32_e32 vcc_lo, 0xc2ce8ed0, v34
	v_fma_f32 v44, 0x3fb8aa3b, v34, -v41
	v_rndne_f32_e32 v45, v41
	v_add_f32_e32 v40, v40, v42
	s_delay_alu instid0(VALU_DEP_2) | instskip(NEXT) | instid1(VALU_DEP_2)
	v_dual_fmac_f32 v44, 0x32a5705f, v34 :: v_dual_sub_f32 v41, v41, v45
	v_exp_f32_e32 v40, v40
	v_cvt_i32_f32_e32 v45, v45
	s_delay_alu instid0(VALU_DEP_2) | instskip(NEXT) | instid1(VALU_DEP_1)
	v_add_f32_e32 v41, v41, v44
	v_exp_f32_e32 v41, v41
	s_waitcnt_depctr 0xfff
	v_ldexp_f32 v40, v40, v43
	s_delay_alu instid0(VALU_DEP_1) | instskip(SKIP_2) | instid1(VALU_DEP_2)
	v_cndmask_b32_e64 v40, 0, v40, s2
	v_cmp_nlt_f32_e64 s2, 0x42b17218, v35
	v_ldexp_f32 v41, v41, v45
	v_cndmask_b32_e64 v88, 0x7f800000, v40, s2
	s_delay_alu instid0(VALU_DEP_2) | instskip(SKIP_1) | instid1(VALU_DEP_3)
	v_cndmask_b32_e32 v41, 0, v41, vcc_lo
	v_cmp_nlt_f32_e32 vcc_lo, 0x42b17218, v34
	v_cvt_f16_f32_e32 v34, v88
	s_delay_alu instid0(VALU_DEP_3) | instskip(NEXT) | instid1(VALU_DEP_1)
	v_cndmask_b32_e32 v89, 0x7f800000, v41, vcc_lo
	v_cvt_f16_f32_e32 v35, v89
	s_delay_alu instid0(VALU_DEP_1)
	v_pack_b32_f16 v34, v35, v34
	ds_store_b32 v27, v34
	s_waitcnt vmcnt(0)
	ds_store_b128 v28, v[36:39]
	s_waitcnt lgkmcnt(0)
	s_barrier
	buffer_gl0_inv
	ds_load_2addr_b64 v[34:37], v31 offset1:32
	ds_load_b128 v[38:41], v26
	ds_load_b128 v[42:45], v26 offset:16
	ds_load_b128 v[46:49], v26 offset:32
	;; [unrolled: 1-line block ×3, first 2 shown]
	ds_load_2addr_b64 v[54:57], v31 offset0:64 offset1:96
	ds_load_2addr_b64 v[58:61], v31 offset0:128 offset1:160
	;; [unrolled: 1-line block ×3, first 2 shown]
	ds_load_2addr_b64 v[66:69], v32 offset1:32
	ds_load_2addr_b64 v[70:73], v32 offset0:64 offset1:96
	ds_load_2addr_b64 v[74:77], v32 offset0:128 offset1:160
	ds_load_2addr_b64 v[78:81], v32 offset0:192 offset1:224
	s_waitcnt lgkmcnt(0)
	s_barrier
	buffer_gl0_inv
	global_load_b128 v[82:85], v[5:6], off
	v_dual_sub_f32 v6, v86, v3 :: v_dual_mov_b32 v5, v33
	v_sub_f32_e32 v33, v87, v2
	s_delay_alu instid0(VALU_DEP_2) | instskip(SKIP_1) | instid1(VALU_DEP_3)
	v_mul_f32_e32 v86, 0x3fb8aa3b, v6
	v_cmp_ngt_f32_e64 s2, 0xc2ce8ed0, v6
	v_mul_f32_e32 v87, 0x3fb8aa3b, v33
	v_cmp_ngt_f32_e32 vcc_lo, 0xc2ce8ed0, v33
	s_delay_alu instid0(VALU_DEP_4) | instskip(SKIP_1) | instid1(VALU_DEP_4)
	v_fma_f32 v90, 0x3fb8aa3b, v6, -v86
	v_rndne_f32_e32 v91, v86
	v_fma_f32 v92, 0x3fb8aa3b, v33, -v87
	v_rndne_f32_e32 v93, v87
	s_delay_alu instid0(VALU_DEP_4) | instskip(NEXT) | instid1(VALU_DEP_4)
	v_fmac_f32_e32 v90, 0x32a5705f, v6
	v_sub_f32_e32 v86, v86, v91
	s_delay_alu instid0(VALU_DEP_4) | instskip(NEXT) | instid1(VALU_DEP_4)
	v_fmac_f32_e32 v92, 0x32a5705f, v33
	v_sub_f32_e32 v87, v87, v93
	v_cvt_i32_f32_e32 v91, v91
	v_cvt_i32_f32_e32 v93, v93
	s_delay_alu instid0(VALU_DEP_3) | instskip(NEXT) | instid1(VALU_DEP_1)
	v_dual_add_f32 v86, v86, v90 :: v_dual_add_f32 v87, v87, v92
	v_exp_f32_e32 v86, v86
	s_delay_alu instid0(VALU_DEP_1) | instskip(SKIP_3) | instid1(VALU_DEP_2)
	v_exp_f32_e32 v87, v87
	s_waitcnt_depctr 0xfff
	v_ldexp_f32 v86, v86, v91
	v_ldexp_f32 v87, v87, v93
	v_cndmask_b32_e64 v86, 0, v86, s2
	v_cmp_nlt_f32_e64 s2, 0x42b17218, v6
	s_delay_alu instid0(VALU_DEP_3) | instskip(SKIP_1) | instid1(VALU_DEP_3)
	v_cndmask_b32_e32 v87, 0, v87, vcc_lo
	v_cmp_nlt_f32_e32 vcc_lo, 0x42b17218, v33
	v_cndmask_b32_e64 v6, 0x7f800000, v86, s2
	s_delay_alu instid0(VALU_DEP_3) | instskip(SKIP_2) | instid1(VALU_DEP_4)
	v_cndmask_b32_e32 v33, 0x7f800000, v87, vcc_lo
	v_pk_mul_f16 v87, v34, v38 op_sel_hi:[1,0]
	v_pk_mul_f16 v34, v34, v38 op_sel:[0,1]
	v_cvt_f16_f32_e32 v86, v6
	s_delay_alu instid0(VALU_DEP_4) | instskip(SKIP_2) | instid1(VALU_DEP_4)
	v_fma_f32 v20, v20, v33, v89
	v_cvt_f16_f32_e32 v33, v33
	v_pk_mul_f16 v89, v35, v38 op_sel_hi:[1,0]
	v_pk_mul_f16 v11, v86, v11 op_sel_hi:[0,1]
	v_pk_fma_f16 v12, v86, v12, v34 op_sel_hi:[0,1,1]
	s_delay_alu instid0(VALU_DEP_4) | instskip(NEXT) | instid1(VALU_DEP_4)
	v_pk_fma_f16 v13, v33, v13, v87 op_sel_hi:[0,1,1]
	v_pk_fma_f16 v14, v33, v14, v89 op_sel_hi:[0,1,1]
	s_delay_alu instid0(VALU_DEP_4) | instskip(NEXT) | instid1(VALU_DEP_4)
	v_pk_fma_f16 v11, v35, v38, v11 op_sel:[0,1,0]
	v_pk_fma_f16 v12, v36, v39, v12 op_sel:[0,1,0]
	s_delay_alu instid0(VALU_DEP_4) | instskip(NEXT) | instid1(VALU_DEP_4)
	v_pk_fma_f16 v13, v36, v39, v13 op_sel_hi:[1,0,1]
	v_pk_fma_f16 v14, v37, v39, v14 op_sel_hi:[1,0,1]
	s_delay_alu instid0(VALU_DEP_4) | instskip(NEXT) | instid1(VALU_DEP_4)
	v_pk_fma_f16 v11, v37, v39, v11 op_sel:[0,1,0]
	v_pk_fma_f16 v12, v54, v40, v12 op_sel:[0,1,0]
	;; [unrolled: 6-line block ×15, first 2 shown]
	s_delay_alu instid0(VALU_DEP_4) | instskip(NEXT) | instid1(VALU_DEP_4)
	v_pk_fma_f16 v78, v80, v53, v13 op_sel_hi:[1,0,1]
	v_pk_fma_f16 v80, v81, v53, v14 op_sel_hi:[1,0,1]
	s_delay_alu instid0(VALU_DEP_4)
	v_pk_fma_f16 v77, v81, v53, v11 op_sel:[0,1,0]
	s_waitcnt vmcnt(0)
	ds_store_b128 v28, v[82:85]
	s_waitcnt lgkmcnt(0)
	s_barrier
	buffer_gl0_inv
	ds_load_2addr_b64 v[11:14], v31 offset1:32
	ds_load_b128 v[33:36], v26 offset:64
	ds_load_b128 v[37:40], v26 offset:80
	;; [unrolled: 1-line block ×4, first 2 shown]
	ds_load_2addr_b64 v[49:52], v31 offset0:64 offset1:96
	ds_load_2addr_b64 v[53:56], v31 offset0:128 offset1:160
	;; [unrolled: 1-line block ×3, first 2 shown]
	ds_load_2addr_b64 v[61:64], v32 offset1:32
	ds_load_2addr_b64 v[65:68], v32 offset0:64 offset1:96
	ds_load_2addr_b64 v[69:72], v32 offset0:128 offset1:160
	;; [unrolled: 1-line block ×3, first 2 shown]
	s_waitcnt lgkmcnt(0)
	s_barrier
	buffer_gl0_inv
	s_load_b32 s2, s[4:5], 0x4
	v_pk_fma_f16 v78, v11, v33, v78 op_sel_hi:[1,0,1]
	v_pk_fma_f16 v11, v11, v33, v79 op_sel:[0,1,0]
	v_pk_fma_f16 v79, v12, v33, v80 op_sel_hi:[1,0,1]
	v_pk_fma_f16 v12, v12, v33, v77 op_sel:[0,1,0]
	s_delay_alu instid0(VALU_DEP_4) | instskip(NEXT) | instid1(VALU_DEP_4)
	v_pk_fma_f16 v33, v13, v34, v78 op_sel_hi:[1,0,1]
	v_pk_fma_f16 v11, v13, v34, v11 op_sel:[0,1,0]
	s_delay_alu instid0(VALU_DEP_4) | instskip(NEXT) | instid1(VALU_DEP_4)
	;; [unrolled: 3-line block ×4, first 2 shown]
	v_pk_fma_f16 v13, v50, v35, v13 op_sel_hi:[1,0,1]
	v_pk_fma_f16 v12, v50, v35, v12 op_sel:[0,1,0]
	v_mov_b32_e32 v33, v88
	v_pk_fma_f16 v14, v51, v36, v14 op_sel_hi:[1,0,1]
	v_pk_fma_f16 v11, v51, v36, v11 op_sel:[0,1,0]
	v_pk_fma_f16 v13, v52, v36, v13 op_sel_hi:[1,0,1]
	v_pk_fma_f16 v12, v52, v36, v12 op_sel:[0,1,0]
	v_fmac_f32_e32 v33, v5, v6
	v_pk_fma_f16 v14, v53, v37, v14 op_sel_hi:[1,0,1]
	v_pk_fma_f16 v11, v53, v37, v11 op_sel:[0,1,0]
	v_pk_fma_f16 v13, v54, v37, v13 op_sel_hi:[1,0,1]
	v_pk_fma_f16 v12, v54, v37, v12 op_sel:[0,1,0]
	s_waitcnt lgkmcnt(0)
	s_lshl_b32 s2, s2, 5
	v_pk_fma_f16 v14, v55, v38, v14 op_sel_hi:[1,0,1]
	v_pk_fma_f16 v11, v55, v38, v11 op_sel:[0,1,0]
	v_pk_fma_f16 v13, v56, v38, v13 op_sel_hi:[1,0,1]
	v_pk_fma_f16 v12, v56, v38, v12 op_sel:[0,1,0]
	s_add_i32 s13, s2, s13
	v_pk_fma_f16 v14, v57, v39, v14 op_sel_hi:[1,0,1]
	v_pk_fma_f16 v11, v57, v39, v11 op_sel:[0,1,0]
	v_pk_fma_f16 v13, v58, v39, v13 op_sel_hi:[1,0,1]
	v_pk_fma_f16 v12, v58, v39, v12 op_sel:[0,1,0]
	s_cmp_ge_i32 s13, s34
	v_pk_fma_f16 v14, v59, v40, v14 op_sel_hi:[1,0,1]
	v_pk_fma_f16 v11, v59, v40, v11 op_sel:[0,1,0]
	v_pk_fma_f16 v13, v60, v40, v13 op_sel_hi:[1,0,1]
	v_pk_fma_f16 v12, v60, v40, v12 op_sel:[0,1,0]
	s_delay_alu instid0(VALU_DEP_4) | instskip(NEXT) | instid1(VALU_DEP_4)
	v_pk_fma_f16 v14, v61, v41, v14 op_sel_hi:[1,0,1]
	v_pk_fma_f16 v11, v61, v41, v11 op_sel:[0,1,0]
	s_delay_alu instid0(VALU_DEP_4) | instskip(NEXT) | instid1(VALU_DEP_4)
	;; [unrolled: 3-line block ×16, first 2 shown]
	v_pk_fma_f16 v14, v76, v48, v11 op_sel_hi:[1,0,1]
	v_pk_fma_f16 v11, v76, v48, v34 op_sel:[0,1,0]
	s_cbranch_scc0 .LBB5_13
; %bb.14:
	v_mov_b32_e32 v21, v8
.LBB5_15:
	v_cmp_lt_i32_e32 vcc_lo, v19, v9
	s_cmp_lg_u64 s[24:25], 0
	s_cselect_b32 s2, -1, 0
	s_cmp_eq_u32 s14, 0
	v_cndmask_b32_e32 v4, v21, v19, vcc_lo
	v_cmp_lt_i32_e32 vcc_lo, v18, v9
	s_cselect_b32 s3, -1, 0
	s_delay_alu instid0(SALU_CYCLE_1)
	s_and_b32 s2, s3, s2
	v_cndmask_b32_e32 v6, v21, v18, vcc_lo
	v_cmp_lt_i32_e32 vcc_lo, v17, v9
	v_dual_cndmask_b32 v17, v21, v17 :: v_dual_lshlrev_b32 v4, 2, v4
	ds_bpermute_b32 v5, v4, v20
	ds_bpermute_b32 v4, v4, v33
	v_cmp_lt_i32_e32 vcc_lo, v16, v9
	v_dual_cndmask_b32 v16, v21, v16 :: v_dual_lshlrev_b32 v17, 2, v17
	v_cmp_lt_i32_e32 vcc_lo, v15, v9
	v_cndmask_b32_e32 v9, v21, v15, vcc_lo
	s_and_b32 vcc_lo, exec_lo, s2
	s_mov_b32 s2, 0
	s_delay_alu instid0(VALU_DEP_1)
	v_lshlrev_b32_e32 v9, 2, v9
	s_waitcnt lgkmcnt(1)
	v_dual_add_f32 v5, v20, v5 :: v_dual_lshlrev_b32 v6, 2, v6
	s_waitcnt lgkmcnt(0)
	v_add_f32_e32 v4, v33, v4
	ds_bpermute_b32 v8, v6, v5
	s_waitcnt lgkmcnt(0)
	v_add_f32_e32 v5, v5, v8
	ds_bpermute_b32 v6, v6, v4
	;; [unrolled: 3-line block ×3, first 2 shown]
	v_lshlrev_b32_e32 v16, 2, v16
	ds_bpermute_b32 v8, v17, v4
	s_waitcnt lgkmcnt(1)
	v_add_f32_e32 v5, v5, v6
	ds_bpermute_b32 v6, v16, v5
	s_waitcnt lgkmcnt(0)
	v_dual_add_f32 v4, v4, v8 :: v_dual_add_f32 v5, v5, v6
	ds_bpermute_b32 v8, v16, v4
	s_waitcnt lgkmcnt(0)
	v_add_f32_e32 v6, v4, v8
	ds_bpermute_b32 v4, v9, v5
	ds_bpermute_b32 v8, v9, v6
	s_waitcnt lgkmcnt(1)
	v_add_f32_e32 v4, v5, v4
	s_waitcnt lgkmcnt(0)
	v_dual_add_f32 v5, v6, v8 :: v_dual_add_nc_u32 v8, s15, v7
	s_cbranch_vccnz .LBB5_17
; %bb.16:
	v_add_nc_u32_e32 v9, s15, v7
	s_delay_alu instid0(VALU_DEP_2)
	v_dual_mov_b32 v7, v5 :: v_dual_mov_b32 v6, v4
	s_and_not1_b32 vcc_lo, exec_lo, s2
	s_cbranch_vccz .LBB5_18
	s_branch .LBB5_19
.LBB5_17:
                                        ; implicit-def: $vgpr9
                                        ; implicit-def: $vgpr6_vgpr7
.LBB5_18:
	s_delay_alu instid0(VALU_DEP_1) | instskip(SKIP_1) | instid1(VALU_DEP_2)
	v_ashrrev_i32_e32 v9, 31, v8
	v_max_f32_e32 v16, v3, v3
	v_lshlrev_b64 v[6:7], 2, v[8:9]
	v_max_f32_e32 v9, v2, v2
	s_delay_alu instid0(VALU_DEP_2) | instskip(NEXT) | instid1(VALU_DEP_3)
	v_add_co_u32 v6, vcc_lo, s24, v6
	v_add_co_ci_u32_e32 v7, vcc_lo, s25, v7, vcc_lo
	global_load_b64 v[6:7], v[6:7], off
	s_waitcnt vmcnt(0)
	v_max_f32_e32 v17, v7, v7
	s_delay_alu instid0(VALU_DEP_1) | instskip(NEXT) | instid1(VALU_DEP_1)
	v_dual_max_f32 v15, v6, v6 :: v_dual_max_f32 v16, v16, v17
	v_max_f32_e32 v15, v9, v15
	s_delay_alu instid0(VALU_DEP_1) | instskip(SKIP_1) | instid1(VALU_DEP_1)
	v_dual_sub_f32 v7, v7, v16 :: v_dual_sub_f32 v6, v6, v15
	v_sub_f32_e32 v3, v3, v16
	v_dual_mul_f32 v17, 0x3fb8aa3b, v6 :: v_dual_mul_f32 v18, 0x3fb8aa3b, v3
	s_delay_alu instid0(VALU_DEP_1) | instskip(NEXT) | instid1(VALU_DEP_2)
	v_fma_f32 v22, 0x3fb8aa3b, v6, -v17
	v_fma_f32 v24, 0x3fb8aa3b, v3, -v18
	v_rndne_f32_e32 v25, v18
	s_delay_alu instid0(VALU_DEP_3) | instskip(SKIP_1) | instid1(VALU_DEP_4)
	v_fmac_f32_e32 v22, 0x32a5705f, v6
	v_sub_f32_e32 v2, v2, v15
	v_fmac_f32_e32 v24, 0x32a5705f, v3
	s_delay_alu instid0(VALU_DEP_4) | instskip(SKIP_1) | instid1(VALU_DEP_4)
	v_dual_sub_f32 v18, v18, v25 :: v_dual_mul_f32 v19, 0x3fb8aa3b, v7
	v_rndne_f32_e32 v23, v17
	v_mul_f32_e32 v9, 0x3fb8aa3b, v2
	v_cmp_ngt_f32_e32 vcc_lo, 0xc2ce8ed0, v2
	s_delay_alu instid0(VALU_DEP_4)
	v_add_f32_e32 v18, v18, v24
	v_fma_f32 v26, 0x3fb8aa3b, v7, -v19
	v_rndne_f32_e32 v27, v19
	v_rndne_f32_e32 v21, v9
	v_fma_f32 v20, 0x3fb8aa3b, v2, -v9
	v_exp_f32_e32 v18, v18
	s_delay_alu instid0(VALU_DEP_3) | instskip(NEXT) | instid1(VALU_DEP_2)
	v_cvt_i32_f32_e32 v24, v27
	v_dual_sub_f32 v9, v9, v21 :: v_dual_fmac_f32 v20, 0x32a5705f, v2
	v_fmac_f32_e32 v26, 0x32a5705f, v7
	v_cvt_i32_f32_e32 v21, v21
	s_delay_alu instid0(VALU_DEP_3) | instskip(NEXT) | instid1(VALU_DEP_1)
	v_add_f32_e32 v9, v9, v20
	v_exp_f32_e32 v20, v9
	v_mov_b32_e32 v9, v8
	s_waitcnt_depctr 0xfff
	v_ldexp_f32 v8, v20, v21
	s_delay_alu instid0(VALU_DEP_1) | instskip(NEXT) | instid1(VALU_DEP_1)
	v_dual_sub_f32 v17, v17, v23 :: v_dual_cndmask_b32 v8, 0, v8
	v_add_f32_e32 v17, v17, v22
	v_cvt_i32_f32_e32 v22, v23
	v_cvt_i32_f32_e32 v23, v25
	v_cmp_ngt_f32_e32 vcc_lo, 0xc2ce8ed0, v6
	s_delay_alu instid0(VALU_DEP_4) | instskip(NEXT) | instid1(VALU_DEP_2)
	v_exp_f32_e32 v17, v17
	v_ldexp_f32 v18, v18, v23
	s_waitcnt_depctr 0xfff
	v_ldexp_f32 v17, v17, v22
	s_delay_alu instid0(VALU_DEP_1) | instskip(SKIP_2) | instid1(VALU_DEP_1)
	v_cndmask_b32_e32 v17, 0, v17, vcc_lo
	v_cmp_ngt_f32_e32 vcc_lo, 0xc2ce8ed0, v3
	v_dual_sub_f32 v19, v19, v27 :: v_dual_cndmask_b32 v18, 0, v18
	v_add_f32_e32 v19, v19, v26
	v_cmp_ngt_f32_e32 vcc_lo, 0xc2ce8ed0, v7
	s_delay_alu instid0(VALU_DEP_2) | instskip(SKIP_2) | instid1(VALU_DEP_1)
	v_exp_f32_e32 v19, v19
	s_waitcnt_depctr 0xfff
	v_ldexp_f32 v19, v19, v24
	v_cndmask_b32_e32 v19, 0, v19, vcc_lo
	v_cmp_nlt_f32_e32 vcc_lo, 0x42b17218, v2
	v_cndmask_b32_e32 v8, 0x7f800000, v8, vcc_lo
	v_cmp_nlt_f32_e32 vcc_lo, 0x42b17218, v6
	;; [unrolled: 2-line block ×3, first 2 shown]
	v_dual_mov_b32 v2, v15 :: v_dual_mov_b32 v3, v16
	s_delay_alu instid0(VALU_DEP_3) | instskip(SKIP_2) | instid1(VALU_DEP_3)
	v_dual_fmac_f32 v6, v4, v8 :: v_dual_cndmask_b32 v17, 0x7f800000, v18
	v_cmp_nlt_f32_e32 vcc_lo, 0x42b17218, v7
	v_cvt_f16_f32_e32 v18, v8
	v_mov_b32_e32 v4, v6
	s_delay_alu instid0(VALU_DEP_4) | instskip(SKIP_1) | instid1(VALU_DEP_4)
	v_cvt_f16_f32_e32 v15, v17
	v_cndmask_b32_e32 v7, 0x7f800000, v19, vcc_lo
	v_pk_mul_f16 v13, v18, v13 op_sel_hi:[0,1]
	v_pk_mul_f16 v14, v18, v14 op_sel_hi:[0,1]
	s_delay_alu instid0(VALU_DEP_4) | instskip(NEXT) | instid1(VALU_DEP_4)
	v_pk_mul_f16 v12, v15, v12 op_sel_hi:[0,1]
	v_fmac_f32_e32 v7, v5, v17
	v_pk_mul_f16 v11, v15, v11 op_sel_hi:[0,1]
	s_delay_alu instid0(VALU_DEP_2)
	v_mov_b32_e32 v5, v7
.LBB5_19:
	s_load_b32 s1, s[0:1], 0xd4
	v_mov_b32_e32 v15, 1.0
	s_waitcnt lgkmcnt(0)
	s_cmp_lg_u32 s1, 1
	s_cselect_b32 s3, -1, 0
	s_cmp_eq_u32 s1, 1
	s_cselect_b32 s2, -1, 0
	s_and_b32 vcc_lo, exec_lo, s3
	s_cbranch_vccnz .LBB5_21
; %bb.20:
	v_div_scale_f32 v8, null, v4, v4, 1.0
	s_delay_alu instid0(VALU_DEP_1) | instskip(SKIP_2) | instid1(VALU_DEP_1)
	v_rcp_f32_e32 v15, v8
	s_waitcnt_depctr 0xfff
	v_fma_f32 v16, -v8, v15, 1.0
	v_fmac_f32_e32 v15, v16, v15
	v_div_scale_f32 v16, vcc_lo, 1.0, v4, 1.0
	s_delay_alu instid0(VALU_DEP_1) | instskip(NEXT) | instid1(VALU_DEP_1)
	v_mul_f32_e32 v17, v16, v15
	v_fma_f32 v18, -v8, v17, v16
	s_delay_alu instid0(VALU_DEP_1) | instskip(NEXT) | instid1(VALU_DEP_1)
	v_fmac_f32_e32 v17, v18, v15
	v_fma_f32 v8, -v8, v17, v16
	s_delay_alu instid0(VALU_DEP_1) | instskip(NEXT) | instid1(VALU_DEP_1)
	v_div_fmas_f32 v8, v8, v15, v17
	v_div_fixup_f32 v15, v8, v4, 1.0
.LBB5_21:
	v_mad_u64_u32 v[16:17], null, s12, s6, v[1:2]
	v_cmp_eq_u32_e32 vcc_lo, 0, v0
	v_lshrrev_b32_e32 v4, 16, v13
	v_cvt_f32_f16_e32 v13, v13
	v_mov_b32_e32 v1, 0
	s_delay_alu instid0(VALU_DEP_3) | instskip(SKIP_1) | instid1(VALU_DEP_4)
	v_cvt_f32_f16_e32 v4, v4
	v_mad_u64_u32 v[17:18], null, v16, s7, v[9:10]
	v_mul_f32_e32 v16, v15, v13
	s_delay_alu instid0(VALU_DEP_2) | instskip(SKIP_3) | instid1(VALU_DEP_3)
	v_mad_u64_u32 v[8:9], null, s1, v17, s[14:15]
	v_lshrrev_b32_e32 v9, 16, v14
	v_cvt_f32_f16_e32 v14, v14
	v_mul_f32_e32 v17, v15, v4
	v_cvt_f32_f16_e32 v9, v9
	v_lshl_add_u32 v0, v8, 7, v10
	s_delay_alu instid0(VALU_DEP_4) | instskip(NEXT) | instid1(VALU_DEP_3)
	v_mul_f32_e32 v18, v15, v14
	v_mul_f32_e32 v19, v15, v9
	s_delay_alu instid0(VALU_DEP_3) | instskip(NEXT) | instid1(VALU_DEP_1)
	v_lshlrev_b64 v[0:1], 2, v[0:1]
	v_add_co_u32 v0, s0, s28, v0
	s_delay_alu instid0(VALU_DEP_1)
	v_add_co_ci_u32_e64 v1, s0, s29, v1, s0
	s_and_b32 s0, vcc_lo, s3
	global_store_b128 v[0:1], v[16:19], off
	s_and_saveexec_b32 s3, s0
	s_cbranch_execz .LBB5_23
; %bb.22:
	v_ashrrev_i32_e32 v9, 31, v8
	v_mov_b32_e32 v13, v2
	v_mov_b32_e32 v14, v6
	s_delay_alu instid0(VALU_DEP_3) | instskip(NEXT) | instid1(VALU_DEP_1)
	v_lshlrev_b64 v[0:1], 3, v[8:9]
	v_add_co_u32 v0, vcc_lo, s30, v0
	s_delay_alu instid0(VALU_DEP_2)
	v_add_co_ci_u32_e32 v1, vcc_lo, s31, v1, vcc_lo
	global_store_b64 v[0:1], v[13:14], off
.LBB5_23:
	s_or_b32 exec_lo, exec_lo, s3
	v_mov_b32_e32 v1, 1.0
	s_and_not1_b32 vcc_lo, exec_lo, s2
	s_cbranch_vccnz .LBB5_25
; %bb.24:
	v_div_scale_f32 v0, null, v5, v5, 1.0
	s_delay_alu instid0(VALU_DEP_1) | instskip(SKIP_2) | instid1(VALU_DEP_1)
	v_rcp_f32_e32 v1, v0
	s_waitcnt_depctr 0xfff
	v_fma_f32 v2, -v0, v1, 1.0
	v_fmac_f32_e32 v1, v2, v1
	v_div_scale_f32 v2, vcc_lo, 1.0, v5, 1.0
	s_delay_alu instid0(VALU_DEP_1) | instskip(NEXT) | instid1(VALU_DEP_1)
	v_mul_f32_e32 v4, v2, v1
	v_fma_f32 v6, -v0, v4, v2
	s_delay_alu instid0(VALU_DEP_1) | instskip(NEXT) | instid1(VALU_DEP_1)
	v_fmac_f32_e32 v4, v6, v1
	v_fma_f32 v0, -v0, v4, v2
	s_delay_alu instid0(VALU_DEP_1) | instskip(NEXT) | instid1(VALU_DEP_1)
	v_div_fmas_f32 v0, v0, v1, v4
	v_div_fixup_f32 v1, v0, v5, 1.0
.LBB5_25:
	v_dual_mov_b32 v5, 0 :: v_dual_add_nc_u32 v0, s1, v8
	v_lshrrev_b32_e32 v2, 16, v12
	v_lshrrev_b32_e32 v6, 16, v11
	v_cvt_f32_f16_e32 v8, v12
	s_delay_alu instid0(VALU_DEP_4)
	v_lshl_add_u32 v4, v0, 7, v10
	v_cvt_f32_f16_e32 v9, v11
	v_cvt_f32_f16_e32 v2, v2
	;; [unrolled: 1-line block ×3, first 2 shown]
	v_mul_f32_e32 v8, v1, v8
	v_lshlrev_b64 v[4:5], 2, v[4:5]
	v_mul_f32_e32 v10, v1, v9
	v_mul_f32_e32 v9, v1, v2
	;; [unrolled: 1-line block ×3, first 2 shown]
	s_delay_alu instid0(VALU_DEP_4)
	v_add_co_u32 v1, vcc_lo, s28, v4
	v_add_co_ci_u32_e32 v2, vcc_lo, s29, v5, vcc_lo
	global_store_b128 v[1:2], v[8:11], off
	s_and_saveexec_b32 s1, s0
	s_cbranch_execz .LBB5_27
; %bb.26:
	v_ashrrev_i32_e32 v1, 31, v0
	v_mov_b32_e32 v6, v3
	s_delay_alu instid0(VALU_DEP_2) | instskip(NEXT) | instid1(VALU_DEP_1)
	v_lshlrev_b64 v[0:1], 3, v[0:1]
	v_add_co_u32 v0, vcc_lo, s30, v0
	s_delay_alu instid0(VALU_DEP_2)
	v_add_co_ci_u32_e32 v1, vcc_lo, s31, v1, vcc_lo
	global_store_b64 v[0:1], v[6:7], off
.LBB5_27:
	s_nop 0
	s_sendmsg sendmsg(MSG_DEALLOC_VGPRS)
	s_endpgm
	.section	.rodata,"a",@progbits
	.p2align	6, 0x0
	.amdhsa_kernel _ZL15flash_attn_tileILi192ELi128ELi1ELi16ELb0EEvPKcS1_S1_S1_S1_PKiPfP15HIP_vector_typeIfLj2EEffffjfiS5_IjLj3EEiiiiiiiiiiiliiliiiiil
		.amdhsa_group_segment_fixed_size 11776
		.amdhsa_private_segment_fixed_size 0
		.amdhsa_kernarg_size 464
		.amdhsa_user_sgpr_count 13
		.amdhsa_user_sgpr_dispatch_ptr 0
		.amdhsa_user_sgpr_queue_ptr 0
		.amdhsa_user_sgpr_kernarg_segment_ptr 1
		.amdhsa_user_sgpr_dispatch_id 0
		.amdhsa_user_sgpr_private_segment_size 0
		.amdhsa_wavefront_size32 1
		.amdhsa_uses_dynamic_stack 0
		.amdhsa_enable_private_segment 0
		.amdhsa_system_sgpr_workgroup_id_x 1
		.amdhsa_system_sgpr_workgroup_id_y 1
		.amdhsa_system_sgpr_workgroup_id_z 1
		.amdhsa_system_sgpr_workgroup_info 0
		.amdhsa_system_vgpr_workitem_id 1
		.amdhsa_next_free_vgpr 94
		.amdhsa_next_free_sgpr 40
		.amdhsa_reserve_vcc 1
		.amdhsa_float_round_mode_32 0
		.amdhsa_float_round_mode_16_64 0
		.amdhsa_float_denorm_mode_32 3
		.amdhsa_float_denorm_mode_16_64 3
		.amdhsa_dx10_clamp 1
		.amdhsa_ieee_mode 1
		.amdhsa_fp16_overflow 0
		.amdhsa_workgroup_processor_mode 1
		.amdhsa_memory_ordered 1
		.amdhsa_forward_progress 0
		.amdhsa_shared_vgpr_count 0
		.amdhsa_exception_fp_ieee_invalid_op 0
		.amdhsa_exception_fp_denorm_src 0
		.amdhsa_exception_fp_ieee_div_zero 0
		.amdhsa_exception_fp_ieee_overflow 0
		.amdhsa_exception_fp_ieee_underflow 0
		.amdhsa_exception_fp_ieee_inexact 0
		.amdhsa_exception_int_div_zero 0
	.end_amdhsa_kernel
	.section	.text._ZL15flash_attn_tileILi192ELi128ELi1ELi16ELb0EEvPKcS1_S1_S1_S1_PKiPfP15HIP_vector_typeIfLj2EEffffjfiS5_IjLj3EEiiiiiiiiiiiliiliiiiil,"axG",@progbits,_ZL15flash_attn_tileILi192ELi128ELi1ELi16ELb0EEvPKcS1_S1_S1_S1_PKiPfP15HIP_vector_typeIfLj2EEffffjfiS5_IjLj3EEiiiiiiiiiiiliiliiiiil,comdat
.Lfunc_end5:
	.size	_ZL15flash_attn_tileILi192ELi128ELi1ELi16ELb0EEvPKcS1_S1_S1_S1_PKiPfP15HIP_vector_typeIfLj2EEffffjfiS5_IjLj3EEiiiiiiiiiiiliiliiiiil, .Lfunc_end5-_ZL15flash_attn_tileILi192ELi128ELi1ELi16ELb0EEvPKcS1_S1_S1_S1_PKiPfP15HIP_vector_typeIfLj2EEffffjfiS5_IjLj3EEiiiiiiiiiiiliiliiiiil
                                        ; -- End function
	.section	.AMDGPU.csdata,"",@progbits
; Kernel info:
; codeLenInByte = 10724
; NumSgprs: 42
; NumVgprs: 94
; ScratchSize: 0
; MemoryBound: 0
; FloatMode: 240
; IeeeMode: 1
; LDSByteSize: 11776 bytes/workgroup (compile time only)
; SGPRBlocks: 5
; VGPRBlocks: 11
; NumSGPRsForWavesPerEU: 42
; NumVGPRsForWavesPerEU: 94
; Occupancy: 16
; WaveLimiterHint : 1
; COMPUTE_PGM_RSRC2:SCRATCH_EN: 0
; COMPUTE_PGM_RSRC2:USER_SGPR: 13
; COMPUTE_PGM_RSRC2:TRAP_HANDLER: 0
; COMPUTE_PGM_RSRC2:TGID_X_EN: 1
; COMPUTE_PGM_RSRC2:TGID_Y_EN: 1
; COMPUTE_PGM_RSRC2:TGID_Z_EN: 1
; COMPUTE_PGM_RSRC2:TIDIG_COMP_CNT: 1
	.section	.text._ZL25flash_attn_mask_to_KV_maxILi1EEvPK7__half2Piiii,"axG",@progbits,_ZL25flash_attn_mask_to_KV_maxILi1EEvPK7__half2Piiii,comdat
	.globl	_ZL25flash_attn_mask_to_KV_maxILi1EEvPK7__half2Piiii ; -- Begin function _ZL25flash_attn_mask_to_KV_maxILi1EEvPK7__half2Piiii
	.p2align	8
	.type	_ZL25flash_attn_mask_to_KV_maxILi1EEvPK7__half2Piiii,@function
_ZL25flash_attn_mask_to_KV_maxILi1EEvPK7__half2Piiii: ; @_ZL25flash_attn_mask_to_KV_maxILi1EEvPK7__half2Piiii
; %bb.0:
	s_load_b128 s[4:7], s[0:1], 0x0
	s_mov_b32 s2, exec_lo
	v_cmpx_gt_u32_e32 32, v0
	s_cbranch_execz .LBB6_2
; %bb.1:
	v_dual_mov_b32 v2, 1 :: v_dual_lshlrev_b32 v1, 2, v0
	ds_store_b32 v1, v2
.LBB6_2:
	s_or_b32 exec_lo, exec_lo, s2
	s_clause 0x1
	s_load_b128 s[8:11], s[0:1], 0x10
	s_load_b32 s1, s[0:1], 0x20
	v_dual_mov_b32 v2, 0 :: v_dual_and_b32 v1, 31, v0
	v_lshrrev_b32_e32 v3, 3, v0
	s_waitcnt lgkmcnt(0)
	s_barrier
	s_delay_alu instid0(VALU_DEP_2) | instskip(SKIP_3) | instid1(SALU_CYCLE_1)
	v_lshlrev_b32_e32 v4, 2, v1
	buffer_gl0_inv
	s_mul_i32 s0, s15, s10
	s_mul_i32 s2, s14, s9
	s_add_i32 s2, s0, s2
	v_cmp_eq_u32_e64 s0, 0, v1
	s_ashr_i32 s3, s2, 31
	s_delay_alu instid0(SALU_CYCLE_1) | instskip(NEXT) | instid1(SALU_CYCLE_1)
	s_lshl_b64 s[10:11], s[2:3], 2
	s_add_u32 s3, s4, s10
	s_addc_u32 s4, s5, s11
	s_lshl_b32 s5, s8, 8
	s_branch .LBB6_4
	.p2align	6
.LBB6_3:                                ;   in Loop: Header=BB6_4 Depth=1
	s_or_b32 exec_lo, exec_lo, s9
	s_waitcnt lgkmcnt(0)
	s_barrier
	buffer_gl0_inv
	ds_load_b32 v1, v4
	s_waitcnt lgkmcnt(0)
	s_barrier
	buffer_gl0_inv
	;;#ASMSTART
	;;#ASMEND
	v_cmp_ne_u32_e32 vcc_lo, 0, v1
	s_cmp_lg_u32 vcc_lo, exec_lo
	s_cselect_b32 s8, -1, 0
	s_delay_alu instid0(SALU_CYCLE_1)
	s_and_b32 vcc_lo, exec_lo, s8
	s_cbranch_vccnz .LBB6_8
.LBB6_4:                                ; =>This Inner Loop Header: Depth=1
	s_mov_b32 s2, s5
	s_addk_i32 s5, 0xff00
	s_delay_alu instid0(SALU_CYCLE_1)
	s_cmp_lt_i32 s5, 0
	s_cbranch_scc1 .LBB6_7
; %bb.5:                                ;   in Loop: Header=BB6_4 Depth=1
	s_lshr_b32 s9, s5, 1
	s_mov_b32 s8, exec_lo
	v_add_nc_u32_e32 v1, s9, v0
	s_delay_alu instid0(VALU_DEP_1) | instskip(NEXT) | instid1(VALU_DEP_1)
	v_lshlrev_b64 v[5:6], 2, v[1:2]
	v_add_co_u32 v5, vcc_lo, s3, v5
	s_delay_alu instid0(VALU_DEP_2) | instskip(SKIP_4) | instid1(VALU_DEP_2)
	v_add_co_ci_u32_e32 v6, vcc_lo, s4, v6, vcc_lo
	global_load_b32 v1, v[5:6], off
	s_waitcnt vmcnt(0)
	v_lshrrev_b32_e32 v5, 16, v1
	v_cmp_class_f16_e64 s9, v1, 0x204
	v_and_b32_e32 v5, 0x7fff, v5
	s_delay_alu instid0(VALU_DEP_1) | instskip(NEXT) | instid1(VALU_DEP_3)
	v_cmp_eq_f16_e32 vcc_lo, 0x7c00, v5
	s_and_b32 s9, s9, vcc_lo
	s_delay_alu instid0(SALU_CYCLE_1) | instskip(SKIP_1) | instid1(VALU_DEP_1)
	v_cndmask_b32_e64 v1, 0, 1, s9
	;;#ASMSTART
	;;#ASMEND
	v_cmp_ne_u32_e32 vcc_lo, 0, v1
	s_and_saveexec_b32 s9, s0
	s_cbranch_execz .LBB6_3
; %bb.6:                                ;   in Loop: Header=BB6_4 Depth=1
	s_cmp_eq_u32 vcc_lo, s8
	s_cselect_b32 s8, -1, 0
	s_delay_alu instid0(SALU_CYCLE_1)
	v_cndmask_b32_e64 v1, 0, 1, s8
	ds_store_b32 v3, v1
	s_branch .LBB6_3
.LBB6_7:                                ;   in Loop: Header=BB6_4 Depth=1
                                        ; implicit-def: $sgpr5
	s_cbranch_execz .LBB6_4
.LBB6_8:
	s_mov_b32 s0, exec_lo
	v_cmpx_eq_u32_e32 0, v0
	s_cbranch_execz .LBB6_10
; %bb.9:
	s_mul_i32 s0, s1, s15
	v_dual_mov_b32 v0, 0 :: v_dual_mov_b32 v1, s2
	s_add_i32 s0, s0, s14
	s_delay_alu instid0(SALU_CYCLE_1) | instskip(NEXT) | instid1(SALU_CYCLE_1)
	s_ashr_i32 s1, s0, 31
	s_lshl_b64 s[0:1], s[0:1], 2
	s_delay_alu instid0(SALU_CYCLE_1)
	s_add_u32 s0, s6, s0
	s_addc_u32 s1, s7, s1
	global_store_b32 v0, v1, s[0:1]
.LBB6_10:
	s_nop 0
	s_sendmsg sendmsg(MSG_DEALLOC_VGPRS)
	s_endpgm
	.section	.rodata,"a",@progbits
	.p2align	6, 0x0
	.amdhsa_kernel _ZL25flash_attn_mask_to_KV_maxILi1EEvPK7__half2Piiii
		.amdhsa_group_segment_fixed_size 128
		.amdhsa_private_segment_fixed_size 0
		.amdhsa_kernarg_size 288
		.amdhsa_user_sgpr_count 14
		.amdhsa_user_sgpr_dispatch_ptr 0
		.amdhsa_user_sgpr_queue_ptr 0
		.amdhsa_user_sgpr_kernarg_segment_ptr 1
		.amdhsa_user_sgpr_dispatch_id 0
		.amdhsa_user_sgpr_private_segment_size 0
		.amdhsa_wavefront_size32 1
		.amdhsa_uses_dynamic_stack 0
		.amdhsa_enable_private_segment 0
		.amdhsa_system_sgpr_workgroup_id_x 1
		.amdhsa_system_sgpr_workgroup_id_y 1
		.amdhsa_system_sgpr_workgroup_id_z 0
		.amdhsa_system_sgpr_workgroup_info 0
		.amdhsa_system_vgpr_workitem_id 0
		.amdhsa_next_free_vgpr 7
		.amdhsa_next_free_sgpr 16
		.amdhsa_reserve_vcc 1
		.amdhsa_float_round_mode_32 0
		.amdhsa_float_round_mode_16_64 0
		.amdhsa_float_denorm_mode_32 3
		.amdhsa_float_denorm_mode_16_64 3
		.amdhsa_dx10_clamp 1
		.amdhsa_ieee_mode 1
		.amdhsa_fp16_overflow 0
		.amdhsa_workgroup_processor_mode 1
		.amdhsa_memory_ordered 1
		.amdhsa_forward_progress 0
		.amdhsa_shared_vgpr_count 0
		.amdhsa_exception_fp_ieee_invalid_op 0
		.amdhsa_exception_fp_denorm_src 0
		.amdhsa_exception_fp_ieee_div_zero 0
		.amdhsa_exception_fp_ieee_overflow 0
		.amdhsa_exception_fp_ieee_underflow 0
		.amdhsa_exception_fp_ieee_inexact 0
		.amdhsa_exception_int_div_zero 0
	.end_amdhsa_kernel
	.section	.text._ZL25flash_attn_mask_to_KV_maxILi1EEvPK7__half2Piiii,"axG",@progbits,_ZL25flash_attn_mask_to_KV_maxILi1EEvPK7__half2Piiii,comdat
.Lfunc_end6:
	.size	_ZL25flash_attn_mask_to_KV_maxILi1EEvPK7__half2Piiii, .Lfunc_end6-_ZL25flash_attn_mask_to_KV_maxILi1EEvPK7__half2Piiii
                                        ; -- End function
	.section	.AMDGPU.csdata,"",@progbits
; Kernel info:
; codeLenInByte = 456
; NumSgprs: 18
; NumVgprs: 7
; ScratchSize: 0
; MemoryBound: 0
; FloatMode: 240
; IeeeMode: 1
; LDSByteSize: 128 bytes/workgroup (compile time only)
; SGPRBlocks: 2
; VGPRBlocks: 0
; NumSGPRsForWavesPerEU: 18
; NumVGPRsForWavesPerEU: 7
; Occupancy: 16
; WaveLimiterHint : 0
; COMPUTE_PGM_RSRC2:SCRATCH_EN: 0
; COMPUTE_PGM_RSRC2:USER_SGPR: 14
; COMPUTE_PGM_RSRC2:TRAP_HANDLER: 0
; COMPUTE_PGM_RSRC2:TGID_X_EN: 1
; COMPUTE_PGM_RSRC2:TGID_Y_EN: 1
; COMPUTE_PGM_RSRC2:TGID_Z_EN: 0
; COMPUTE_PGM_RSRC2:TIDIG_COMP_CNT: 0
	.section	.text._ZL33flash_attn_stream_k_fixup_uniformILi128ELi1ELi16EEvPfPK15HIP_vector_typeIfLj2EEiiiiiiS1_IjLj3EES5_S5_,"axG",@progbits,_ZL33flash_attn_stream_k_fixup_uniformILi128ELi1ELi16EEvPfPK15HIP_vector_typeIfLj2EEiiiiiiS1_IjLj3EES5_S5_,comdat
	.globl	_ZL33flash_attn_stream_k_fixup_uniformILi128ELi1ELi16EEvPfPK15HIP_vector_typeIfLj2EEiiiiiiS1_IjLj3EES5_S5_ ; -- Begin function _ZL33flash_attn_stream_k_fixup_uniformILi128ELi1ELi16EEvPfPK15HIP_vector_typeIfLj2EEiiiiiiS1_IjLj3EES5_S5_
	.p2align	8
	.type	_ZL33flash_attn_stream_k_fixup_uniformILi128ELi1ELi16EEvPfPK15HIP_vector_typeIfLj2EEiiiiiiS1_IjLj3EES5_S5_,@function
_ZL33flash_attn_stream_k_fixup_uniformILi128ELi1ELi16EEvPfPK15HIP_vector_typeIfLj2EEiiiiiiS1_IjLj3EES5_S5_: ; @_ZL33flash_attn_stream_k_fixup_uniformILi128ELi1ELi16EEvPfPK15HIP_vector_typeIfLj2EEiiiiiiS1_IjLj3EES5_S5_
; %bb.0:
	s_clause 0x1
	s_load_b256 s[4:11], s[0:1], 0x1c
	s_load_b128 s[16:19], s[0:1], 0x3c
	s_waitcnt lgkmcnt(0)
	s_mul_hi_u32 s2, s7, s13
	s_delay_alu instid0(SALU_CYCLE_1) | instskip(NEXT) | instid1(SALU_CYCLE_1)
	s_add_i32 s2, s13, s2
	s_lshr_b32 s7, s2, s8
	s_delay_alu instid0(SALU_CYCLE_1) | instskip(SKIP_2) | instid1(SALU_CYCLE_1)
	s_mul_i32 s2, s7, s9
	s_load_b64 s[8:9], s[0:1], 0x10
	s_sub_i32 s2, s13, s2
	s_mul_hi_u32 s3, s2, s10
	s_delay_alu instid0(SALU_CYCLE_1) | instskip(NEXT) | instid1(SALU_CYCLE_1)
	s_add_i32 s3, s2, s3
	s_lshr_b32 s10, s3, s11
	s_delay_alu instid0(SALU_CYCLE_1) | instskip(NEXT) | instid1(SALU_CYCLE_1)
	s_mul_i32 s3, s10, s16
	s_sub_i32 s2, s2, s3
	s_delay_alu instid0(SALU_CYCLE_1) | instskip(NEXT) | instid1(SALU_CYCLE_1)
	s_mul_hi_u32 s3, s2, s17
	s_add_i32 s3, s2, s3
	s_delay_alu instid0(SALU_CYCLE_1) | instskip(NEXT) | instid1(SALU_CYCLE_1)
	s_lshr_b32 s3, s3, s18
	s_mul_i32 s11, s3, s19
	s_lshl_b32 s12, s3, 4
	s_sub_i32 s11, s2, s11
	s_delay_alu instid0(SALU_CYCLE_1) | instskip(SKIP_4) | instid1(SALU_CYCLE_1)
	s_add_i32 s11, s11, s14
	s_waitcnt lgkmcnt(0)
	s_cmp_lt_i32 s11, s8
	s_cselect_b32 s2, -1, 0
	s_add_i32 s12, s12, s15
	s_cmp_lt_i32 s12, s5
	s_cselect_b32 s3, -1, 0
	s_delay_alu instid0(SALU_CYCLE_1) | instskip(NEXT) | instid1(SALU_CYCLE_1)
	s_and_b32 s2, s2, s3
	s_and_not1_b32 vcc_lo, exec_lo, s2
	s_cbranch_vccnz .LBB7_6
; %bb.1:
	s_mul_i32 s7, s7, s8
	s_mul_i32 s10, s10, s5
	s_add_i32 s5, s11, s7
	s_load_b128 s[0:3], s[0:1], 0x0
	s_add_i32 s7, s12, s10
	s_mul_i32 s5, s5, s9
	s_delay_alu instid0(SALU_CYCLE_1) | instskip(SKIP_3) | instid1(VALU_DEP_1)
	s_add_i32 s7, s7, s5
	s_mul_i32 s5, s13, s6
	v_lshl_or_b32 v1, s7, 7, v0
	s_add_i32 s9, s5, s6
	v_ashrrev_i32_e32 v2, 31, v1
	s_delay_alu instid0(VALU_DEP_1) | instskip(SKIP_1) | instid1(VALU_DEP_1)
	v_lshlrev_b64 v[1:2], 2, v[1:2]
	s_waitcnt lgkmcnt(0)
	v_add_co_u32 v1, vcc_lo, s0, v1
	s_delay_alu instid0(VALU_DEP_2) | instskip(SKIP_1) | instid1(SALU_CYCLE_1)
	v_add_co_ci_u32_e32 v2, vcc_lo, s1, v2, vcc_lo
	s_add_i32 s0, s14, s9
	s_lshl_b32 s0, s0, 4
	global_load_b32 v5, v[1:2], off
	s_add_i32 s0, s0, s15
	s_delay_alu instid0(SALU_CYCLE_1) | instskip(NEXT) | instid1(SALU_CYCLE_1)
	s_add_i32 s0, s0, -16
	s_ashr_i32 s1, s0, 31
	s_delay_alu instid0(SALU_CYCLE_1) | instskip(NEXT) | instid1(SALU_CYCLE_1)
	s_lshl_b64 s[0:1], s[0:1], 3
	s_add_u32 s0, s2, s0
	s_addc_u32 s1, s3, s1
	s_add_i32 s7, s9, -2
	s_load_b32 s10, s[0:1], 0x4
	s_cmp_lt_i32 s7, s5
	s_cbranch_scc1 .LBB7_4
; %bb.2:
	s_lshl_b32 s16, s4, 6
	s_load_b32 s11, s[0:1], 0x0
	s_ashr_i32 s17, s16, 31
	s_delay_alu instid0(SALU_CYCLE_1) | instskip(NEXT) | instid1(SALU_CYCLE_1)
	s_lshl_b64 s[0:1], s[16:17], 2
	s_add_u32 s7, s2, s0
	s_addc_u32 s8, s3, s1
	s_add_i32 s13, s13, 1
	s_lshl_b32 s0, s15, 7
	s_lshl_b32 s1, s14, 11
	s_mul_i32 s6, s6, s13
	s_add_i32 s0, s0, s1
	s_lshl_b32 s1, s6, 11
	s_delay_alu instid0(SALU_CYCLE_1)
	s_add_i32 s0, s0, s1
	s_add_i32 s1, s14, s4
	v_or_b32_e32 v0, s0, v0
	s_add_i32 s1, s1, s9
	s_waitcnt lgkmcnt(0)
	v_mov_b32_e32 v6, s10
	s_lshl_b32 s0, s1, 4
	s_add_i32 s4, s9, -1
	v_dual_mov_b32 v0, s11 :: v_dual_add_nc_u32 v3, 0xfffff000, v0
	s_add_i32 s15, s15, s0
	s_delay_alu instid0(SALU_CYCLE_1)
	s_sub_i32 s0, s15, 32
.LBB7_3:                                ; =>This Inner Loop Header: Depth=1
	s_delay_alu instid0(VALU_DEP_1) | instskip(SKIP_1) | instid1(SALU_CYCLE_1)
	v_ashrrev_i32_e32 v4, 31, v3
	s_ashr_i32 s1, s0, 31
	s_lshl_b64 s[10:11], s[0:1], 3
	s_delay_alu instid0(SALU_CYCLE_1) | instskip(NEXT) | instid1(VALU_DEP_1)
	s_add_u32 s10, s2, s10
	v_lshlrev_b64 v[7:8], 2, v[3:4]
	s_addc_u32 s11, s3, s11
	s_add_i32 s4, s4, -1
	s_add_i32 s0, s0, -16
	s_cmp_le_i32 s4, s5
	s_load_b64 s[10:11], s[10:11], 0x0
	v_add_co_u32 v7, vcc_lo, s7, v7
	v_add_co_ci_u32_e32 v8, vcc_lo, s8, v8, vcc_lo
	global_load_b32 v4, v[7:8], off
	v_max_f32_e32 v7, v0, v0
	s_waitcnt lgkmcnt(0)
	v_max_f32_e64 v8, s10, s10
	s_delay_alu instid0(VALU_DEP_1) | instskip(NEXT) | instid1(VALU_DEP_1)
	v_max_f32_e32 v7, v7, v8
	v_sub_f32_e32 v8, s10, v7
	s_delay_alu instid0(VALU_DEP_1) | instskip(NEXT) | instid1(VALU_DEP_1)
	v_dual_sub_f32 v0, v0, v7 :: v_dual_mul_f32 v9, 0x3fb8aa3b, v8
	v_fma_f32 v10, 0x3fb8aa3b, v8, -v9
	v_rndne_f32_e32 v11, v9
	s_delay_alu instid0(VALU_DEP_3) | instskip(NEXT) | instid1(VALU_DEP_2)
	v_mul_f32_e32 v12, 0x3fb8aa3b, v0
	v_dual_fmac_f32 v10, 0x32a5705f, v8 :: v_dual_sub_f32 v9, v9, v11
	v_cvt_i32_f32_e32 v11, v11
	s_delay_alu instid0(VALU_DEP_3) | instskip(SKIP_1) | instid1(VALU_DEP_4)
	v_fma_f32 v13, 0x3fb8aa3b, v0, -v12
	v_rndne_f32_e32 v14, v12
	v_add_f32_e32 v9, v9, v10
	v_cmp_ngt_f32_e32 vcc_lo, 0xc2ce8ed0, v8
	s_delay_alu instid0(VALU_DEP_3) | instskip(NEXT) | instid1(VALU_DEP_3)
	v_sub_f32_e32 v10, v12, v14
	v_exp_f32_e32 v9, v9
	s_waitcnt_depctr 0xfff
	v_ldexp_f32 v9, v9, v11
	v_cvt_i32_f32_e32 v11, v14
	s_delay_alu instid0(VALU_DEP_2) | instskip(SKIP_1) | instid1(VALU_DEP_2)
	v_cndmask_b32_e32 v9, 0, v9, vcc_lo
	v_cmp_nlt_f32_e32 vcc_lo, 0x42b17218, v8
	v_cndmask_b32_e32 v9, 0x7f800000, v9, vcc_lo
	v_cmp_ngt_f32_e32 vcc_lo, 0xc2ce8ed0, v0
	v_fmac_f32_e32 v13, 0x32a5705f, v0
	s_delay_alu instid0(VALU_DEP_1) | instskip(NEXT) | instid1(VALU_DEP_1)
	v_add_f32_e32 v10, v10, v13
	v_exp_f32_e32 v10, v10
	s_waitcnt_depctr 0xfff
	v_ldexp_f32 v10, v10, v11
	s_delay_alu instid0(VALU_DEP_1)
	v_dual_mov_b32 v11, v6 :: v_dual_cndmask_b32 v10, 0, v10
	v_cmp_le_f32_e32 vcc_lo, 0xc1a00000, v8
	s_waitcnt vmcnt(1)
	v_dual_cndmask_b32 v8, 0, v9 :: v_dual_mov_b32 v9, v5
	v_cmp_nlt_f32_e32 vcc_lo, 0x42b17218, v0
	v_cndmask_b32_e32 v5, 0x7f800000, v10, vcc_lo
	s_delay_alu instid0(VALU_DEP_3) | instskip(SKIP_2) | instid1(VALU_DEP_3)
	v_mul_f32_e32 v10, s11, v8
	v_cmp_le_f32_e32 vcc_lo, 0xc1a00000, v0
	v_mov_b32_e32 v0, v7
	v_mov_b32_e32 v6, v10
	s_waitcnt vmcnt(0)
	v_dual_cndmask_b32 v12, 0, v5 :: v_dual_mul_f32 v5, v4, v8
	s_delay_alu instid0(VALU_DEP_1) | instskip(NEXT) | instid1(VALU_DEP_2)
	v_dual_fmac_f32 v6, v11, v12 :: v_dual_add_nc_u32 v3, 0xfffff800, v3
	v_fmac_f32_e32 v5, v9, v12
	s_cbranch_scc0 .LBB7_3
	s_branch .LBB7_5
.LBB7_4:
	s_waitcnt lgkmcnt(0)
	v_mov_b32_e32 v6, s10
.LBB7_5:
	s_waitcnt vmcnt(0)
	s_delay_alu instid0(VALU_DEP_1) | instskip(NEXT) | instid1(VALU_DEP_1)
	v_div_scale_f32 v0, null, v6, v6, v5
	v_rcp_f32_e32 v3, v0
	s_waitcnt_depctr 0xfff
	v_fma_f32 v4, -v0, v3, 1.0
	s_delay_alu instid0(VALU_DEP_1) | instskip(SKIP_1) | instid1(VALU_DEP_1)
	v_fmac_f32_e32 v3, v4, v3
	v_div_scale_f32 v4, vcc_lo, v5, v6, v5
	v_mul_f32_e32 v7, v4, v3
	s_delay_alu instid0(VALU_DEP_1) | instskip(NEXT) | instid1(VALU_DEP_1)
	v_fma_f32 v8, -v0, v7, v4
	v_fmac_f32_e32 v7, v8, v3
	s_delay_alu instid0(VALU_DEP_1) | instskip(NEXT) | instid1(VALU_DEP_1)
	v_fma_f32 v0, -v0, v7, v4
	v_div_fmas_f32 v0, v0, v3, v7
	s_delay_alu instid0(VALU_DEP_1)
	v_div_fixup_f32 v0, v0, v6, v5
	global_store_b32 v[1:2], v0, off
.LBB7_6:
	s_nop 0
	s_sendmsg sendmsg(MSG_DEALLOC_VGPRS)
	s_endpgm
	.section	.rodata,"a",@progbits
	.p2align	6, 0x0
	.amdhsa_kernel _ZL33flash_attn_stream_k_fixup_uniformILi128ELi1ELi16EEvPfPK15HIP_vector_typeIfLj2EEiiiiiiS1_IjLj3EES5_S5_
		.amdhsa_group_segment_fixed_size 0
		.amdhsa_private_segment_fixed_size 0
		.amdhsa_kernarg_size 76
		.amdhsa_user_sgpr_count 13
		.amdhsa_user_sgpr_dispatch_ptr 0
		.amdhsa_user_sgpr_queue_ptr 0
		.amdhsa_user_sgpr_kernarg_segment_ptr 1
		.amdhsa_user_sgpr_dispatch_id 0
		.amdhsa_user_sgpr_private_segment_size 0
		.amdhsa_wavefront_size32 1
		.amdhsa_uses_dynamic_stack 0
		.amdhsa_enable_private_segment 0
		.amdhsa_system_sgpr_workgroup_id_x 1
		.amdhsa_system_sgpr_workgroup_id_y 1
		.amdhsa_system_sgpr_workgroup_id_z 1
		.amdhsa_system_sgpr_workgroup_info 0
		.amdhsa_system_vgpr_workitem_id 0
		.amdhsa_next_free_vgpr 15
		.amdhsa_next_free_sgpr 20
		.amdhsa_reserve_vcc 1
		.amdhsa_float_round_mode_32 0
		.amdhsa_float_round_mode_16_64 0
		.amdhsa_float_denorm_mode_32 3
		.amdhsa_float_denorm_mode_16_64 3
		.amdhsa_dx10_clamp 1
		.amdhsa_ieee_mode 1
		.amdhsa_fp16_overflow 0
		.amdhsa_workgroup_processor_mode 1
		.amdhsa_memory_ordered 1
		.amdhsa_forward_progress 0
		.amdhsa_shared_vgpr_count 0
		.amdhsa_exception_fp_ieee_invalid_op 0
		.amdhsa_exception_fp_denorm_src 0
		.amdhsa_exception_fp_ieee_div_zero 0
		.amdhsa_exception_fp_ieee_overflow 0
		.amdhsa_exception_fp_ieee_underflow 0
		.amdhsa_exception_fp_ieee_inexact 0
		.amdhsa_exception_int_div_zero 0
	.end_amdhsa_kernel
	.section	.text._ZL33flash_attn_stream_k_fixup_uniformILi128ELi1ELi16EEvPfPK15HIP_vector_typeIfLj2EEiiiiiiS1_IjLj3EES5_S5_,"axG",@progbits,_ZL33flash_attn_stream_k_fixup_uniformILi128ELi1ELi16EEvPfPK15HIP_vector_typeIfLj2EEiiiiiiS1_IjLj3EES5_S5_,comdat
.Lfunc_end7:
	.size	_ZL33flash_attn_stream_k_fixup_uniformILi128ELi1ELi16EEvPfPK15HIP_vector_typeIfLj2EEiiiiiiS1_IjLj3EES5_S5_, .Lfunc_end7-_ZL33flash_attn_stream_k_fixup_uniformILi128ELi1ELi16EEvPfPK15HIP_vector_typeIfLj2EEiiiiiiS1_IjLj3EES5_S5_
                                        ; -- End function
	.section	.AMDGPU.csdata,"",@progbits
; Kernel info:
; codeLenInByte = 968
; NumSgprs: 22
; NumVgprs: 15
; ScratchSize: 0
; MemoryBound: 0
; FloatMode: 240
; IeeeMode: 1
; LDSByteSize: 0 bytes/workgroup (compile time only)
; SGPRBlocks: 2
; VGPRBlocks: 1
; NumSGPRsForWavesPerEU: 22
; NumVGPRsForWavesPerEU: 15
; Occupancy: 16
; WaveLimiterHint : 0
; COMPUTE_PGM_RSRC2:SCRATCH_EN: 0
; COMPUTE_PGM_RSRC2:USER_SGPR: 13
; COMPUTE_PGM_RSRC2:TRAP_HANDLER: 0
; COMPUTE_PGM_RSRC2:TGID_X_EN: 1
; COMPUTE_PGM_RSRC2:TGID_Y_EN: 1
; COMPUTE_PGM_RSRC2:TGID_Z_EN: 1
; COMPUTE_PGM_RSRC2:TIDIG_COMP_CNT: 0
	.section	.text._ZL33flash_attn_stream_k_fixup_generalILi128ELi1ELi16EEvPfPK15HIP_vector_typeIfLj2EEiiiiS1_IjLj3EES5_S5_S5_,"axG",@progbits,_ZL33flash_attn_stream_k_fixup_generalILi128ELi1ELi16EEvPfPK15HIP_vector_typeIfLj2EEiiiiS1_IjLj3EES5_S5_S5_,comdat
	.globl	_ZL33flash_attn_stream_k_fixup_generalILi128ELi1ELi16EEvPfPK15HIP_vector_typeIfLj2EEiiiiS1_IjLj3EES5_S5_S5_ ; -- Begin function _ZL33flash_attn_stream_k_fixup_generalILi128ELi1ELi16EEvPfPK15HIP_vector_typeIfLj2EEiiiiS1_IjLj3EES5_S5_S5_
	.p2align	8
	.type	_ZL33flash_attn_stream_k_fixup_generalILi128ELi1ELi16EEvPfPK15HIP_vector_typeIfLj2EEiiiiS1_IjLj3EES5_S5_S5_,@function
_ZL33flash_attn_stream_k_fixup_generalILi128ELi1ELi16EEvPfPK15HIP_vector_typeIfLj2EEiiiiS1_IjLj3EES5_S5_S5_: ; @_ZL33flash_attn_stream_k_fixup_generalILi128ELi1ELi16EEvPfPK15HIP_vector_typeIfLj2EEiiiiS1_IjLj3EES5_S5_S5_
; %bb.0:
	s_clause 0x1
	s_load_b128 s[4:7], s[0:1], 0x10
	s_load_b32 s20, s[0:1], 0x50
	s_mov_b32 s2, 0
	s_waitcnt lgkmcnt(0)
	s_mul_hi_i32 s3, s7, s13
	s_mul_i32 s12, s7, s13
	s_cmp_lg_u64 s[2:3], 0
	s_cbranch_scc0 .LBB8_21
; %bb.1:
	v_cvt_f32_ubyte0_e32 v1, 0
	v_cvt_f32_u32_e32 v2, s20
	s_sub_u32 s10, 0, s20
	s_subb_u32 s11, 0, 0
	s_delay_alu instid0(VALU_DEP_1) | instskip(NEXT) | instid1(VALU_DEP_1)
	v_fmamk_f32 v1, v1, 0x4f800000, v2
	v_rcp_f32_e32 v1, v1
	s_waitcnt_depctr 0xfff
	v_mul_f32_e32 v1, 0x5f7ffffc, v1
	s_delay_alu instid0(VALU_DEP_1) | instskip(NEXT) | instid1(VALU_DEP_1)
	v_mul_f32_e32 v2, 0x2f800000, v1
	v_trunc_f32_e32 v2, v2
	s_delay_alu instid0(VALU_DEP_1) | instskip(SKIP_1) | instid1(VALU_DEP_2)
	v_fmamk_f32 v1, v2, 0xcf800000, v1
	v_cvt_u32_f32_e32 v2, v2
	v_cvt_u32_f32_e32 v1, v1
	s_delay_alu instid0(VALU_DEP_2) | instskip(NEXT) | instid1(VALU_DEP_2)
	v_readfirstlane_b32 s8, v2
	v_readfirstlane_b32 s9, v1
	s_delay_alu instid0(VALU_DEP_2) | instskip(NEXT) | instid1(VALU_DEP_1)
	s_mul_i32 s16, s10, s8
	s_mul_hi_u32 s18, s10, s9
	s_mul_i32 s17, s11, s9
	s_add_i32 s16, s18, s16
	s_mul_i32 s19, s10, s9
	s_add_i32 s16, s16, s17
	s_mul_hi_u32 s18, s9, s19
	s_mul_hi_u32 s21, s8, s19
	s_mul_i32 s17, s8, s19
	s_mul_hi_u32 s19, s9, s16
	s_mul_i32 s9, s9, s16
	s_mul_hi_u32 s22, s8, s16
	s_add_u32 s9, s18, s9
	s_addc_u32 s18, 0, s19
	s_add_u32 s9, s9, s17
	s_mul_i32 s16, s8, s16
	s_addc_u32 s9, s18, s21
	s_addc_u32 s17, s22, 0
	s_add_u32 s9, s9, s16
	s_addc_u32 s16, 0, s17
	v_add_co_u32 v1, s9, v1, s9
	s_delay_alu instid0(VALU_DEP_1) | instskip(SKIP_1) | instid1(VALU_DEP_1)
	s_cmp_lg_u32 s9, 0
	s_addc_u32 s8, s8, s16
	v_readfirstlane_b32 s9, v1
	s_mul_i32 s16, s10, s8
	s_delay_alu instid0(VALU_DEP_1)
	s_mul_hi_u32 s17, s10, s9
	s_mul_i32 s11, s11, s9
	s_add_i32 s16, s17, s16
	s_mul_i32 s10, s10, s9
	s_add_i32 s16, s16, s11
	s_mul_hi_u32 s17, s8, s10
	s_mul_i32 s18, s8, s10
	s_mul_hi_u32 s10, s9, s10
	s_mul_hi_u32 s19, s9, s16
	s_mul_i32 s9, s9, s16
	s_mul_hi_u32 s11, s8, s16
	s_add_u32 s9, s10, s9
	s_addc_u32 s10, 0, s19
	s_add_u32 s9, s9, s18
	s_mul_i32 s16, s8, s16
	s_addc_u32 s9, s10, s17
	s_addc_u32 s10, s11, 0
	s_add_u32 s9, s9, s16
	s_addc_u32 s10, 0, s10
	v_add_co_u32 v1, s9, v1, s9
	s_delay_alu instid0(VALU_DEP_1) | instskip(SKIP_2) | instid1(SALU_CYCLE_1)
	s_cmp_lg_u32 s9, 0
	s_addc_u32 s16, s8, s10
	s_ashr_i32 s8, s3, 31
	s_add_u32 s10, s12, s8
	s_addc_u32 s11, s3, s8
	v_readfirstlane_b32 s3, v1
	s_mov_b32 s9, s8
	s_delay_alu instid0(SALU_CYCLE_1) | instskip(NEXT) | instid1(SALU_CYCLE_1)
	s_xor_b64 s[10:11], s[10:11], s[8:9]
	s_mul_i32 s18, s10, s16
	s_delay_alu instid0(VALU_DEP_1)
	s_mul_hi_u32 s19, s10, s3
	s_mul_hi_u32 s17, s10, s16
	;; [unrolled: 1-line block ×3, first 2 shown]
	s_mul_i32 s3, s11, s3
	s_add_u32 s18, s19, s18
	s_addc_u32 s17, 0, s17
	s_mul_hi_u32 s21, s11, s16
	s_add_u32 s3, s18, s3
	s_mul_i32 s16, s11, s16
	s_addc_u32 s3, s17, s22
	s_addc_u32 s17, s21, 0
	s_add_u32 s3, s3, s16
	s_addc_u32 s16, 0, s17
	s_mul_i32 s18, s20, s3
	s_add_u32 s17, s3, 1
	v_sub_co_u32 v1, s10, s10, s18
	s_mul_hi_u32 s18, s20, s3
	s_addc_u32 s19, s16, 0
	s_mul_i32 s21, s20, s16
	s_delay_alu instid0(VALU_DEP_1)
	v_sub_co_u32 v2, s22, v1, s20
	s_add_u32 s23, s3, 2
	s_addc_u32 s24, s16, 0
	s_add_i32 s18, s18, s21
	s_cmp_lg_u32 s10, 0
	v_readfirstlane_b32 s10, v2
	s_subb_u32 s11, s11, s18
	s_cmp_lg_u32 s22, 0
	s_subb_u32 s18, s11, 0
	s_delay_alu instid0(VALU_DEP_1) | instskip(SKIP_4) | instid1(SALU_CYCLE_1)
	s_cmp_ge_u32 s10, s20
	s_cselect_b32 s10, -1, 0
	s_cmp_eq_u32 s18, 0
	v_readfirstlane_b32 s18, v1
	s_cselect_b32 s10, s10, -1
	s_cmp_lg_u32 s10, 0
	s_cselect_b32 s10, s23, s17
	s_cselect_b32 s17, s24, s19
	s_cmp_ge_u32 s18, s20
	s_cselect_b32 s18, -1, 0
	s_cmp_eq_u32 s11, 0
	s_cselect_b32 s11, s18, -1
	s_delay_alu instid0(SALU_CYCLE_1) | instskip(SKIP_2) | instid1(SALU_CYCLE_1)
	s_cmp_lg_u32 s11, 0
	s_cselect_b32 s11, s17, s16
	s_cselect_b32 s10, s10, s3
	s_xor_b64 s[10:11], s[10:11], s[8:9]
	s_delay_alu instid0(SALU_CYCLE_1)
	s_sub_u32 s16, s10, s8
	s_load_b128 s[8:11], s[0:1], 0x44
	s_and_not1_b32 vcc_lo, exec_lo, s2
	s_cbranch_vccnz .LBB8_3
.LBB8_2:
	v_cvt_f32_u32_e32 v1, s20
	s_sub_i32 s3, 0, s20
	s_delay_alu instid0(VALU_DEP_1) | instskip(SKIP_2) | instid1(VALU_DEP_1)
	v_rcp_iflag_f32_e32 v1, v1
	s_waitcnt_depctr 0xfff
	v_mul_f32_e32 v1, 0x4f7ffffe, v1
	v_cvt_u32_f32_e32 v1, v1
	s_delay_alu instid0(VALU_DEP_1) | instskip(NEXT) | instid1(VALU_DEP_1)
	v_readfirstlane_b32 s2, v1
	s_mul_i32 s3, s3, s2
	s_delay_alu instid0(SALU_CYCLE_1) | instskip(NEXT) | instid1(SALU_CYCLE_1)
	s_mul_hi_u32 s3, s2, s3
	s_add_i32 s2, s2, s3
	s_delay_alu instid0(SALU_CYCLE_1) | instskip(NEXT) | instid1(SALU_CYCLE_1)
	s_mul_hi_u32 s2, s12, s2
	s_mul_i32 s3, s2, s20
	s_waitcnt lgkmcnt(0)
	s_add_i32 s11, s2, 1
	s_sub_i32 s3, s12, s3
	s_delay_alu instid0(SALU_CYCLE_1)
	s_sub_i32 s12, s3, s20
	s_cmp_ge_u32 s3, s20
	s_cselect_b32 s2, s11, s2
	s_cselect_b32 s3, s12, s3
	s_add_i32 s11, s2, 1
	s_cmp_ge_u32 s3, s20
	s_cselect_b32 s16, s11, s2
.LBB8_3:
	s_waitcnt lgkmcnt(0)
	s_add_i32 s11, s13, 1
	s_mov_b32 s2, 0
	s_mul_hi_i32 s3, s7, s11
	s_mul_i32 s11, s7, s11
	s_cmp_lg_u64 s[2:3], 0
	s_cbranch_scc0 .LBB8_22
; %bb.4:
	v_cvt_f32_ubyte0_e32 v1, 0
	v_cvt_f32_u32_e32 v2, s20
	s_sub_u32 s18, 0, s20
	s_subb_u32 s19, 0, 0
	s_delay_alu instid0(VALU_DEP_1) | instskip(NEXT) | instid1(VALU_DEP_1)
	v_fmamk_f32 v1, v1, 0x4f800000, v2
	v_rcp_f32_e32 v1, v1
	s_waitcnt_depctr 0xfff
	v_mul_f32_e32 v1, 0x5f7ffffc, v1
	s_delay_alu instid0(VALU_DEP_1) | instskip(NEXT) | instid1(VALU_DEP_1)
	v_mul_f32_e32 v2, 0x2f800000, v1
	v_trunc_f32_e32 v2, v2
	s_delay_alu instid0(VALU_DEP_1) | instskip(SKIP_1) | instid1(VALU_DEP_2)
	v_fmamk_f32 v1, v2, 0xcf800000, v1
	v_cvt_u32_f32_e32 v2, v2
	v_cvt_u32_f32_e32 v1, v1
	s_delay_alu instid0(VALU_DEP_2) | instskip(NEXT) | instid1(VALU_DEP_2)
	v_readfirstlane_b32 s12, v2
	v_readfirstlane_b32 s17, v1
	s_delay_alu instid0(VALU_DEP_2) | instskip(NEXT) | instid1(VALU_DEP_1)
	s_mul_i32 s21, s18, s12
	s_mul_hi_u32 s23, s18, s17
	s_mul_i32 s22, s19, s17
	s_add_i32 s21, s23, s21
	s_mul_i32 s24, s18, s17
	s_add_i32 s21, s21, s22
	s_mul_hi_u32 s23, s17, s24
	s_mul_hi_u32 s25, s12, s24
	s_mul_i32 s22, s12, s24
	s_mul_hi_u32 s24, s17, s21
	s_mul_i32 s17, s17, s21
	s_mul_hi_u32 s26, s12, s21
	s_add_u32 s17, s23, s17
	s_addc_u32 s23, 0, s24
	s_add_u32 s17, s17, s22
	s_mul_i32 s21, s12, s21
	s_addc_u32 s17, s23, s25
	s_addc_u32 s22, s26, 0
	s_add_u32 s17, s17, s21
	s_addc_u32 s21, 0, s22
	v_add_co_u32 v1, s17, v1, s17
	s_delay_alu instid0(VALU_DEP_1) | instskip(SKIP_1) | instid1(VALU_DEP_1)
	s_cmp_lg_u32 s17, 0
	s_addc_u32 s12, s12, s21
	v_readfirstlane_b32 s17, v1
	s_mul_i32 s21, s18, s12
	s_delay_alu instid0(VALU_DEP_1)
	s_mul_hi_u32 s22, s18, s17
	s_mul_i32 s19, s19, s17
	s_add_i32 s21, s22, s21
	s_mul_i32 s18, s18, s17
	s_add_i32 s21, s21, s19
	s_mul_hi_u32 s22, s12, s18
	s_mul_i32 s23, s12, s18
	s_mul_hi_u32 s18, s17, s18
	s_mul_hi_u32 s24, s17, s21
	s_mul_i32 s17, s17, s21
	s_mul_hi_u32 s19, s12, s21
	s_add_u32 s17, s18, s17
	s_addc_u32 s18, 0, s24
	s_add_u32 s17, s17, s23
	s_mul_i32 s21, s12, s21
	s_addc_u32 s17, s18, s22
	s_addc_u32 s18, s19, 0
	s_add_u32 s17, s17, s21
	s_addc_u32 s18, 0, s18
	v_add_co_u32 v1, s17, v1, s17
	s_delay_alu instid0(VALU_DEP_1) | instskip(SKIP_2) | instid1(SALU_CYCLE_1)
	s_cmp_lg_u32 s17, 0
	s_addc_u32 s12, s12, s18
	s_ashr_i32 s18, s3, 31
	s_add_u32 s22, s11, s18
	s_addc_u32 s23, s3, s18
	v_readfirstlane_b32 s3, v1
	s_mov_b32 s19, s18
	s_delay_alu instid0(SALU_CYCLE_1) | instskip(NEXT) | instid1(SALU_CYCLE_1)
	s_xor_b64 s[22:23], s[22:23], s[18:19]
	s_mul_i32 s21, s22, s12
	s_delay_alu instid0(VALU_DEP_1)
	s_mul_hi_u32 s24, s22, s3
	s_mul_hi_u32 s17, s22, s12
	;; [unrolled: 1-line block ×3, first 2 shown]
	s_mul_i32 s3, s23, s3
	s_add_u32 s21, s24, s21
	s_addc_u32 s17, 0, s17
	s_mul_hi_u32 s25, s23, s12
	s_add_u32 s3, s21, s3
	s_mul_i32 s12, s23, s12
	s_addc_u32 s3, s17, s26
	s_addc_u32 s17, s25, 0
	s_add_u32 s3, s3, s12
	s_addc_u32 s12, 0, s17
	s_mul_i32 s21, s20, s3
	s_add_u32 s17, s3, 1
	v_sub_co_u32 v1, s21, s22, s21
	s_mul_hi_u32 s22, s20, s3
	s_addc_u32 s24, s12, 0
	s_mul_i32 s25, s20, s12
	s_delay_alu instid0(VALU_DEP_1)
	v_sub_co_u32 v2, s26, v1, s20
	s_add_u32 s27, s3, 2
	s_addc_u32 s28, s12, 0
	s_add_i32 s22, s22, s25
	s_cmp_lg_u32 s21, 0
	v_readfirstlane_b32 s21, v2
	s_subb_u32 s22, s23, s22
	s_cmp_lg_u32 s26, 0
	s_subb_u32 s23, s22, 0
	s_delay_alu instid0(VALU_DEP_1) | instskip(SKIP_4) | instid1(SALU_CYCLE_1)
	s_cmp_ge_u32 s21, s20
	s_cselect_b32 s21, -1, 0
	s_cmp_eq_u32 s23, 0
	v_readfirstlane_b32 s23, v1
	s_cselect_b32 s21, s21, -1
	s_cmp_lg_u32 s21, 0
	s_cselect_b32 s17, s27, s17
	s_cselect_b32 s21, s28, s24
	s_cmp_ge_u32 s23, s20
	s_cselect_b32 s23, -1, 0
	s_cmp_eq_u32 s22, 0
	s_cselect_b32 s22, s23, -1
	s_delay_alu instid0(SALU_CYCLE_1) | instskip(SKIP_2) | instid1(SALU_CYCLE_1)
	s_cmp_lg_u32 s22, 0
	s_cselect_b32 s23, s21, s12
	s_cselect_b32 s22, s17, s3
	s_xor_b64 s[22:23], s[22:23], s[18:19]
	s_delay_alu instid0(SALU_CYCLE_1)
	s_sub_u32 s18, s22, s18
	s_and_not1_b32 vcc_lo, exec_lo, s2
	s_cbranch_vccnz .LBB8_6
.LBB8_5:
	v_cvt_f32_u32_e32 v1, s20
	s_sub_i32 s3, 0, s20
	s_delay_alu instid0(VALU_DEP_1) | instskip(SKIP_2) | instid1(VALU_DEP_1)
	v_rcp_iflag_f32_e32 v1, v1
	s_waitcnt_depctr 0xfff
	v_mul_f32_e32 v1, 0x4f7ffffe, v1
	v_cvt_u32_f32_e32 v1, v1
	s_delay_alu instid0(VALU_DEP_1) | instskip(NEXT) | instid1(VALU_DEP_1)
	v_readfirstlane_b32 s2, v1
	s_mul_i32 s3, s3, s2
	s_delay_alu instid0(SALU_CYCLE_1) | instskip(NEXT) | instid1(SALU_CYCLE_1)
	s_mul_hi_u32 s3, s2, s3
	s_add_i32 s2, s2, s3
	s_delay_alu instid0(SALU_CYCLE_1) | instskip(NEXT) | instid1(SALU_CYCLE_1)
	s_mul_hi_u32 s2, s11, s2
	s_mul_i32 s3, s2, s20
	s_delay_alu instid0(SALU_CYCLE_1)
	s_sub_i32 s3, s11, s3
	s_add_i32 s11, s2, 1
	s_sub_i32 s12, s3, s20
	s_cmp_ge_u32 s3, s20
	s_cselect_b32 s2, s11, s2
	s_cselect_b32 s3, s12, s3
	s_add_i32 s11, s2, 1
	s_cmp_ge_u32 s3, s20
	s_cselect_b32 s18, s11, s2
.LBB8_6:
	s_delay_alu instid0(SALU_CYCLE_1) | instskip(SKIP_3) | instid1(SALU_CYCLE_1)
	s_cmp_eq_u32 s16, s18
	s_mul_hi_u32 s2, s16, s8
	s_cselect_b32 s3, -1, 0
	s_add_i32 s2, s2, s16
	s_lshr_b32 s11, s2, s9
	s_delay_alu instid0(SALU_CYCLE_1) | instskip(NEXT) | instid1(SALU_CYCLE_1)
	s_mul_i32 s2, s11, s10
	s_cmp_eq_u32 s2, s16
	s_mul_hi_u32 s2, s18, s8
	s_cselect_b32 s12, -1, 0
	s_add_i32 s2, s2, s18
	s_delay_alu instid0(SALU_CYCLE_1) | instskip(NEXT) | instid1(SALU_CYCLE_1)
	s_lshr_b32 s2, s2, s9
	s_cmp_eq_u32 s11, s2
	s_mul_i32 s2, s2, s10
	s_cselect_b32 s17, -1, 0
	s_cmp_lg_u32 s2, s18
	s_cselect_b32 s2, -1, 0
	s_or_b32 s3, s3, s12
	s_and_b32 s2, s17, s2
	s_delay_alu instid0(SALU_CYCLE_1) | instskip(NEXT) | instid1(SALU_CYCLE_1)
	s_or_b32 s2, s3, s2
	s_and_b32 vcc_lo, exec_lo, s2
	s_cbranch_vccnz .LBB8_24
; %bb.7:
	s_load_b256 s[24:31], s[0:1], 0x20
	s_waitcnt lgkmcnt(0)
	s_mul_hi_u32 s2, s16, s24
	s_delay_alu instid0(SALU_CYCLE_1) | instskip(NEXT) | instid1(SALU_CYCLE_1)
	s_add_i32 s2, s2, s16
	s_lshr_b32 s17, s2, s25
	s_load_b32 s2, s[0:1], 0x40
	s_mul_i32 s3, s17, s26
	s_delay_alu instid0(SALU_CYCLE_1) | instskip(NEXT) | instid1(SALU_CYCLE_1)
	s_sub_i32 s3, s16, s3
	s_mul_hi_u32 s12, s3, s27
	s_delay_alu instid0(SALU_CYCLE_1) | instskip(NEXT) | instid1(SALU_CYCLE_1)
	s_add_i32 s12, s3, s12
	s_lshr_b32 s18, s12, s28
	s_delay_alu instid0(SALU_CYCLE_1) | instskip(NEXT) | instid1(SALU_CYCLE_1)
	s_mul_i32 s12, s18, s29
	s_sub_i32 s3, s3, s12
	s_delay_alu instid0(SALU_CYCLE_1) | instskip(NEXT) | instid1(SALU_CYCLE_1)
	s_mul_hi_u32 s12, s3, s30
	s_add_i32 s12, s3, s12
	s_delay_alu instid0(SALU_CYCLE_1)
	s_lshr_b32 s12, s12, s31
	s_waitcnt lgkmcnt(0)
	s_mul_i32 s2, s12, s2
	s_lshl_b32 s21, s12, 4
	s_sub_i32 s2, s3, s2
	s_mov_b32 s12, 0
	s_mul_hi_u32 s3, s2, s8
	s_delay_alu instid0(SALU_CYCLE_1) | instskip(NEXT) | instid1(SALU_CYCLE_1)
	s_add_i32 s2, s2, s3
	s_lshr_b32 s19, s2, s9
	s_delay_alu instid0(SALU_CYCLE_1) | instskip(NEXT) | instid1(SALU_CYCLE_1)
	s_add_i32 s19, s19, s14
	s_cmp_lt_i32 s19, s4
	s_cselect_b32 s2, -1, 0
	s_add_i32 s21, s21, s15
	s_delay_alu instid0(SALU_CYCLE_1) | instskip(SKIP_1) | instid1(SALU_CYCLE_1)
	s_cmp_lt_i32 s21, s6
	s_cselect_b32 s3, -1, 0
	s_and_b32 s2, s2, s3
	s_delay_alu instid0(SALU_CYCLE_1)
	s_and_not1_b32 vcc_lo, exec_lo, s2
	s_cbranch_vccnz .LBB8_24
; %bb.8:
	s_load_b128 s[0:3], s[0:1], 0x0
	s_lshl_b32 s22, s20, 6
	s_mov_b32 s23, s12
	s_mul_i32 s4, s17, s4
	s_lshl_b64 s[22:23], s[22:23], 2
	s_mul_i32 s18, s18, s6
	v_cvt_f32_ubyte0_e32 v4, 0
	v_cvt_f32_u32_e32 v5, s20
	s_waitcnt lgkmcnt(0)
	s_add_u32 s6, s2, s22
	s_addc_u32 s17, s3, s23
	s_add_i32 s4, s19, s4
	s_add_i32 s18, s21, s18
	s_mul_i32 s4, s4, s5
	s_delay_alu instid0(SALU_CYCLE_1) | instskip(NEXT) | instid1(SALU_CYCLE_1)
	s_add_i32 s18, s18, s4
	v_lshl_or_b32 v1, s18, 7, v0
	v_lshl_or_b32 v0, s15, 7, v0
	s_delay_alu instid0(VALU_DEP_2) | instskip(NEXT) | instid1(VALU_DEP_1)
	v_ashrrev_i32_e32 v2, 31, v1
	v_lshlrev_b64 v[1:2], 2, v[1:2]
	s_delay_alu instid0(VALU_DEP_1) | instskip(NEXT) | instid1(VALU_DEP_2)
	v_add_co_u32 v1, vcc_lo, s0, v1
	v_add_co_ci_u32_e32 v2, vcc_lo, s1, v2, vcc_lo
	s_add_i32 s0, s14, s13
	s_delay_alu instid0(SALU_CYCLE_1) | instskip(SKIP_2) | instid1(SALU_CYCLE_1)
	s_lshl_b32 s0, s0, 4
	global_load_b32 v3, v[1:2], off
	s_add_i32 s0, s0, s15
	s_ashr_i32 s1, s0, 31
	s_delay_alu instid0(SALU_CYCLE_1) | instskip(NEXT) | instid1(SALU_CYCLE_1)
	s_lshl_b64 s[0:1], s[0:1], 3
	s_add_u32 s0, s2, s0
	s_addc_u32 s1, s3, s1
	s_add_i32 s19, s13, -1
	s_load_b64 s[0:1], s[0:1], 0x0
	v_fmac_f32_e32 v5, 0x4f800000, v4
	s_sub_i32 s18, 0, s20
	s_waitcnt lgkmcnt(0)
	v_mov_b32_e32 v8, s0
	s_delay_alu instid0(VALU_DEP_2) | instskip(SKIP_2) | instid1(VALU_DEP_2)
	v_rcp_f32_e32 v4, v5
	v_cvt_f32_u32_e32 v5, s20
	v_mov_b32_e32 v7, s1
	v_rcp_iflag_f32_e32 v5, v5
	s_waitcnt_depctr 0xfff
	v_mul_f32_e32 v4, 0x5f7ffffc, v4
	s_delay_alu instid0(VALU_DEP_1) | instskip(SKIP_1) | instid1(VALU_DEP_2)
	v_mul_f32_e32 v6, 0x2f800000, v4
	v_mul_f32_e32 v9, 0x4f7ffffe, v5
	v_trunc_f32_e32 v6, v6
	s_delay_alu instid0(VALU_DEP_1) | instskip(SKIP_1) | instid1(VALU_DEP_4)
	v_fmac_f32_e32 v4, 0xcf800000, v6
	v_cvt_u32_f32_e32 v5, v6
	v_cvt_u32_f32_e32 v6, v9
	s_delay_alu instid0(VALU_DEP_3)
	v_cvt_u32_f32_e32 v4, v4
.LBB8_9:                                ; =>This Inner Loop Header: Depth=1
	s_mul_hi_i32 s13, s19, s7
	s_mul_i32 s4, s19, s7
	s_cmp_lg_u64 s[12:13], 0
	s_mov_b32 s5, -1
                                        ; implicit-def: $sgpr0_sgpr1
	s_cbranch_scc0 .LBB8_11
; %bb.10:                               ;   in Loop: Header=BB8_9 Depth=1
	v_readfirstlane_b32 s0, v4
	v_readfirstlane_b32 s1, v5
	s_sub_u32 s5, 0, s20
	s_subb_u32 s21, 0, 0
	s_delay_alu instid0(VALU_DEP_2) | instskip(NEXT) | instid1(VALU_DEP_1)
	s_mul_hi_u32 s22, s5, s0
	s_mul_i32 s23, s5, s1
	s_mul_i32 s24, s21, s0
	s_add_i32 s22, s22, s23
	s_mul_i32 s23, s5, s0
	s_add_i32 s22, s22, s24
	s_mul_hi_u32 s24, s0, s23
	s_mul_i32 s25, s0, s22
	s_mul_hi_u32 s0, s0, s22
	s_add_u32 s24, s24, s25
	s_mul_i32 s26, s1, s23
	s_addc_u32 s0, 0, s0
	s_mul_hi_u32 s23, s1, s23
	s_mul_hi_u32 s25, s1, s22
	s_add_u32 s24, s24, s26
	s_addc_u32 s0, s0, s23
	s_mul_i32 s22, s1, s22
	s_addc_u32 s23, s25, 0
	s_add_u32 s0, s0, s22
	s_addc_u32 s22, 0, s23
	v_add_co_u32 v9, s0, v4, s0
	s_delay_alu instid0(VALU_DEP_1) | instskip(SKIP_1) | instid1(VALU_DEP_1)
	s_cmp_lg_u32 s0, 0
	s_addc_u32 s1, s1, s22
	v_readfirstlane_b32 s0, v9
	s_mul_i32 s22, s5, s1
	s_delay_alu instid0(VALU_DEP_1)
	s_mul_hi_u32 s23, s5, s0
	s_mul_i32 s21, s21, s0
	s_add_i32 s22, s23, s22
	s_mul_i32 s5, s5, s0
	s_add_i32 s22, s22, s21
	s_mul_hi_u32 s21, s1, s5
	s_mul_i32 s24, s1, s5
	s_mul_i32 s25, s0, s22
	s_mul_hi_u32 s5, s0, s5
	s_mul_hi_u32 s0, s0, s22
	s_add_u32 s5, s5, s25
	s_addc_u32 s0, 0, s0
	s_mul_hi_u32 s23, s1, s22
	s_add_u32 s5, s5, s24
	s_addc_u32 s0, s0, s21
	s_mul_i32 s5, s1, s22
	s_addc_u32 s21, s23, 0
	s_add_u32 s0, s0, s5
	s_addc_u32 s5, 0, s21
	v_add_co_u32 v9, s0, v9, s0
	s_delay_alu instid0(VALU_DEP_1) | instskip(SKIP_2) | instid1(SALU_CYCLE_1)
	s_cmp_lg_u32 s0, 0
	s_addc_u32 s5, s1, s5
	s_ashr_i32 s0, s13, 31
	s_add_u32 s22, s4, s0
	s_addc_u32 s23, s13, s0
	v_readfirstlane_b32 s13, v9
	s_mov_b32 s1, s0
	s_delay_alu instid0(SALU_CYCLE_1) | instskip(NEXT) | instid1(SALU_CYCLE_1)
	s_xor_b64 s[22:23], s[22:23], s[0:1]
	s_mul_i32 s21, s22, s5
	s_delay_alu instid0(VALU_DEP_1)
	s_mul_hi_u32 s24, s22, s13
	s_mul_hi_u32 s25, s22, s5
	s_add_u32 s21, s24, s21
	s_mul_i32 s26, s23, s13
	s_addc_u32 s24, 0, s25
	s_mul_hi_u32 s13, s23, s13
	s_mul_hi_u32 s25, s23, s5
	s_add_u32 s21, s21, s26
	s_addc_u32 s13, s24, s13
	s_mul_i32 s5, s23, s5
	s_addc_u32 s21, s25, 0
	s_add_u32 s5, s13, s5
	s_addc_u32 s13, 0, s21
	s_mul_i32 s24, s20, s5
	s_add_u32 s21, s5, 1
	v_sub_co_u32 v9, s22, s22, s24
	s_addc_u32 s24, s13, 0
	s_mul_i32 s26, s20, s13
	s_mul_hi_u32 s28, s20, s5
	s_delay_alu instid0(VALU_DEP_1)
	v_sub_co_u32 v10, s27, v9, s20
	s_add_u32 s25, s5, 2
	s_addc_u32 s29, s13, 0
	s_add_i32 s28, s28, s26
	s_cmp_lg_u32 s22, 0
	v_readfirstlane_b32 s22, v10
	s_subb_u32 s23, s23, s28
	s_cmp_lg_u32 s27, 0
	s_subb_u32 s26, s23, 0
	s_delay_alu instid0(VALU_DEP_1) | instskip(SKIP_4) | instid1(SALU_CYCLE_1)
	s_cmp_ge_u32 s22, s20
	s_cselect_b32 s22, -1, 0
	s_cmp_eq_u32 s26, 0
	v_readfirstlane_b32 s26, v9
	s_cselect_b32 s22, s22, -1
	s_cmp_lg_u32 s22, 0
	s_cselect_b32 s21, s25, s21
	s_cselect_b32 s22, s29, s24
	s_cmp_ge_u32 s26, s20
	s_cselect_b32 s24, -1, 0
	s_cmp_eq_u32 s23, 0
	s_cselect_b32 s23, s24, -1
	s_delay_alu instid0(SALU_CYCLE_1) | instskip(SKIP_4) | instid1(SALU_CYCLE_1)
	s_cmp_lg_u32 s23, 0
	s_cselect_b32 s23, s22, s13
	s_cselect_b32 s22, s21, s5
	s_mov_b32 s5, 0
	s_xor_b64 s[22:23], s[22:23], s[0:1]
	s_sub_u32 s0, s22, s0
.LBB8_11:                               ;   in Loop: Header=BB8_9 Depth=1
	s_and_not1_b32 vcc_lo, exec_lo, s5
	s_cbranch_vccnz .LBB8_13
; %bb.12:                               ;   in Loop: Header=BB8_9 Depth=1
	v_readfirstlane_b32 s0, v6
	s_delay_alu instid0(VALU_DEP_1) | instskip(NEXT) | instid1(SALU_CYCLE_1)
	s_mul_i32 s1, s18, s0
	s_mul_hi_u32 s1, s0, s1
	s_delay_alu instid0(SALU_CYCLE_1) | instskip(NEXT) | instid1(SALU_CYCLE_1)
	s_add_i32 s0, s0, s1
	s_mul_hi_u32 s0, s4, s0
	s_delay_alu instid0(SALU_CYCLE_1) | instskip(NEXT) | instid1(SALU_CYCLE_1)
	s_mul_i32 s1, s0, s20
	s_sub_i32 s1, s4, s1
	s_add_i32 s4, s0, 1
	s_sub_i32 s5, s1, s20
	s_cmp_ge_u32 s1, s20
	s_cselect_b32 s0, s4, s0
	s_cselect_b32 s1, s5, s1
	s_add_i32 s4, s0, 1
	s_cmp_ge_u32 s1, s20
	s_cselect_b32 s0, s4, s0
.LBB8_13:                               ;   in Loop: Header=BB8_9 Depth=1
	s_delay_alu instid0(SALU_CYCLE_1)
	s_cmp_lg_u32 s16, s0
	s_cbranch_scc0 .LBB8_17
; %bb.14:                               ;   in Loop: Header=BB8_9 Depth=1
	s_add_i32 s22, s19, s14
	s_mov_b32 s5, s12
	s_add_i32 s1, s22, s20
	s_mov_b32 s21, s16
	s_lshl_b32 s1, s1, 4
	s_delay_alu instid0(SALU_CYCLE_1) | instskip(SKIP_2) | instid1(SALU_CYCLE_1)
	s_add_i32 s4, s1, s15
	s_mul_hi_u32 s1, s0, s8
	s_lshl_b64 s[4:5], s[4:5], 3
	s_add_u32 s4, s2, s4
	s_addc_u32 s5, s3, s5
	s_add_i32 s1, s1, s0
	s_delay_alu instid0(SALU_CYCLE_1) | instskip(NEXT) | instid1(SALU_CYCLE_1)
	s_lshr_b32 s1, s1, s9
	s_mul_i32 s13, s1, s10
	s_delay_alu instid0(SALU_CYCLE_1) | instskip(SKIP_3) | instid1(SALU_CYCLE_1)
	s_cmp_eq_u32 s13, s0
	s_cselect_b32 s13, -1, 0
	s_cmp_lt_u32 s1, s11
	s_cselect_b32 s1, -1, 0
	s_or_b32 s1, s1, s13
	s_mov_b32 s13, -1
	s_and_b32 vcc_lo, exec_lo, s1
	s_mov_b32 s1, s19
	s_cbranch_vccnz .LBB8_16
; %bb.15:                               ;   in Loop: Header=BB8_9 Depth=1
	s_add_i32 s1, s19, -1
	s_mov_b32 s13, 0
	s_mov_b32 s21, s0
.LBB8_16:                               ;   in Loop: Header=BB8_9 Depth=1
	v_lshl_add_u32 v9, s22, 11, v0
	s_load_b64 s[4:5], s[4:5], 0x0
	s_delay_alu instid0(VALU_DEP_1) | instskip(NEXT) | instid1(VALU_DEP_1)
	v_ashrrev_i32_e32 v10, 31, v9
	v_lshlrev_b64 v[9:10], 2, v[9:10]
	s_delay_alu instid0(VALU_DEP_1) | instskip(NEXT) | instid1(VALU_DEP_2)
	v_add_co_u32 v9, vcc_lo, s6, v9
	v_add_co_ci_u32_e32 v10, vcc_lo, s17, v10, vcc_lo
	s_waitcnt lgkmcnt(0)
	v_max_f32_e64 v11, s4, s4
	global_load_b32 v10, v[9:10], off
	v_max_f32_e32 v9, v8, v8
	s_delay_alu instid0(VALU_DEP_1) | instskip(NEXT) | instid1(VALU_DEP_1)
	v_max_f32_e32 v9, v9, v11
	v_sub_f32_e32 v12, v8, v9
	s_delay_alu instid0(VALU_DEP_1) | instskip(NEXT) | instid1(VALU_DEP_1)
	v_dual_mul_f32 v14, 0x3fb8aa3b, v12 :: v_dual_sub_f32 v11, s4, v9
	v_rndne_f32_e32 v18, v14
	s_delay_alu instid0(VALU_DEP_2) | instskip(SKIP_2) | instid1(VALU_DEP_4)
	v_mul_f32_e32 v13, 0x3fb8aa3b, v11
	v_fma_f32 v17, 0x3fb8aa3b, v12, -v14
	v_cmp_ngt_f32_e32 vcc_lo, 0xc2ce8ed0, v11
	v_sub_f32_e32 v14, v14, v18
	s_delay_alu instid0(VALU_DEP_4) | instskip(SKIP_2) | instid1(VALU_DEP_3)
	v_fma_f32 v15, 0x3fb8aa3b, v11, -v13
	v_rndne_f32_e32 v16, v13
	v_fmac_f32_e32 v17, 0x32a5705f, v12
	v_fmac_f32_e32 v15, 0x32a5705f, v11
	s_delay_alu instid0(VALU_DEP_2) | instskip(NEXT) | instid1(VALU_DEP_1)
	v_dual_sub_f32 v13, v13, v16 :: v_dual_add_f32 v14, v14, v17
	v_add_f32_e32 v13, v13, v15
	s_delay_alu instid0(VALU_DEP_2) | instskip(SKIP_2) | instid1(VALU_DEP_3)
	v_exp_f32_e32 v14, v14
	v_cvt_i32_f32_e32 v15, v16
	v_cvt_i32_f32_e32 v16, v18
	v_exp_f32_e32 v13, v13
	s_waitcnt_depctr 0xfff
	v_ldexp_f32 v14, v14, v16
	v_ldexp_f32 v13, v13, v15
	s_delay_alu instid0(VALU_DEP_1) | instskip(SKIP_1) | instid1(VALU_DEP_4)
	v_cndmask_b32_e32 v13, 0, v13, vcc_lo
	v_cmp_ngt_f32_e32 vcc_lo, 0xc2ce8ed0, v12
	v_cndmask_b32_e32 v14, 0, v14, vcc_lo
	v_cmp_nlt_f32_e32 vcc_lo, 0x42b17218, v11
	s_delay_alu instid0(VALU_DEP_4) | instskip(SKIP_1) | instid1(VALU_DEP_4)
	v_cndmask_b32_e32 v13, 0x7f800000, v13, vcc_lo
	v_cmp_nlt_f32_e32 vcc_lo, 0x42b17218, v12
	v_cndmask_b32_e32 v14, 0x7f800000, v14, vcc_lo
	v_cmp_le_f32_e32 vcc_lo, 0xc1a00000, v11
	s_delay_alu instid0(VALU_DEP_4) | instskip(SKIP_1) | instid1(VALU_DEP_4)
	v_cndmask_b32_e32 v11, 0, v13, vcc_lo
	v_cmp_le_f32_e32 vcc_lo, 0xc1a00000, v12
	v_cndmask_b32_e32 v12, 0, v14, vcc_lo
	s_waitcnt vmcnt(0)
	s_delay_alu instid0(VALU_DEP_3) | instskip(NEXT) | instid1(VALU_DEP_1)
	v_mul_f32_e32 v10, v10, v11
	v_dual_mul_f32 v11, s5, v11 :: v_dual_fmac_f32 v10, v3, v12
	s_delay_alu instid0(VALU_DEP_1)
	v_fmac_f32_e32 v11, v7, v12
	s_cbranch_execz .LBB8_18
	s_branch .LBB8_19
.LBB8_17:                               ;   in Loop: Header=BB8_9 Depth=1
                                        ; implicit-def: $sgpr13
                                        ; implicit-def: $vgpr10
                                        ; implicit-def: $vgpr9
                                        ; implicit-def: $vgpr11
                                        ; implicit-def: $sgpr1
                                        ; implicit-def: $sgpr21
.LBB8_18:                               ;   in Loop: Header=BB8_9 Depth=1
	v_mov_b32_e32 v11, v7
	s_waitcnt vmcnt(0)
	v_dual_mov_b32 v9, v8 :: v_dual_mov_b32 v10, v3
	s_add_i32 s1, s19, -1
	s_mov_b32 s13, 0
	s_mov_b32 s21, s16
.LBB8_19:                               ;   in Loop: Header=BB8_9 Depth=1
	s_and_not1_b32 vcc_lo, exec_lo, s13
	s_cbranch_vccz .LBB8_23
; %bb.20:                               ;   in Loop: Header=BB8_9 Depth=1
	v_dual_mov_b32 v7, v11 :: v_dual_mov_b32 v8, v9
	s_waitcnt vmcnt(0)
	v_mov_b32_e32 v3, v10
	s_mov_b32 s16, s21
	s_mov_b32 s19, s1
	s_branch .LBB8_9
.LBB8_21:
                                        ; implicit-def: $sgpr16_sgpr17
	s_load_b128 s[8:11], s[0:1], 0x44
	s_branch .LBB8_2
.LBB8_22:
                                        ; implicit-def: $sgpr18_sgpr19
	s_branch .LBB8_5
.LBB8_23:
	v_div_scale_f32 v0, null, v11, v11, v10
	s_waitcnt vmcnt(0)
	s_delay_alu instid0(VALU_DEP_1) | instskip(SKIP_2) | instid1(VALU_DEP_1)
	v_rcp_f32_e32 v3, v0
	s_waitcnt_depctr 0xfff
	v_fma_f32 v4, -v0, v3, 1.0
	v_fmac_f32_e32 v3, v4, v3
	v_div_scale_f32 v4, vcc_lo, v10, v11, v10
	s_delay_alu instid0(VALU_DEP_1) | instskip(NEXT) | instid1(VALU_DEP_1)
	v_mul_f32_e32 v5, v4, v3
	v_fma_f32 v6, -v0, v5, v4
	s_delay_alu instid0(VALU_DEP_1) | instskip(NEXT) | instid1(VALU_DEP_1)
	v_fmac_f32_e32 v5, v6, v3
	v_fma_f32 v0, -v0, v5, v4
	s_delay_alu instid0(VALU_DEP_1) | instskip(NEXT) | instid1(VALU_DEP_1)
	v_div_fmas_f32 v0, v0, v3, v5
	v_div_fixup_f32 v0, v0, v11, v10
	global_store_b32 v[1:2], v0, off
.LBB8_24:
	s_nop 0
	s_sendmsg sendmsg(MSG_DEALLOC_VGPRS)
	s_endpgm
	.section	.rodata,"a",@progbits
	.p2align	6, 0x0
	.amdhsa_kernel _ZL33flash_attn_stream_k_fixup_generalILi128ELi1ELi16EEvPfPK15HIP_vector_typeIfLj2EEiiiiS1_IjLj3EES5_S5_S5_
		.amdhsa_group_segment_fixed_size 0
		.amdhsa_private_segment_fixed_size 0
		.amdhsa_kernarg_size 336
		.amdhsa_user_sgpr_count 13
		.amdhsa_user_sgpr_dispatch_ptr 0
		.amdhsa_user_sgpr_queue_ptr 0
		.amdhsa_user_sgpr_kernarg_segment_ptr 1
		.amdhsa_user_sgpr_dispatch_id 0
		.amdhsa_user_sgpr_private_segment_size 0
		.amdhsa_wavefront_size32 1
		.amdhsa_uses_dynamic_stack 0
		.amdhsa_enable_private_segment 0
		.amdhsa_system_sgpr_workgroup_id_x 1
		.amdhsa_system_sgpr_workgroup_id_y 1
		.amdhsa_system_sgpr_workgroup_id_z 1
		.amdhsa_system_sgpr_workgroup_info 0
		.amdhsa_system_vgpr_workitem_id 0
		.amdhsa_next_free_vgpr 19
		.amdhsa_next_free_sgpr 32
		.amdhsa_reserve_vcc 1
		.amdhsa_float_round_mode_32 0
		.amdhsa_float_round_mode_16_64 0
		.amdhsa_float_denorm_mode_32 3
		.amdhsa_float_denorm_mode_16_64 3
		.amdhsa_dx10_clamp 1
		.amdhsa_ieee_mode 1
		.amdhsa_fp16_overflow 0
		.amdhsa_workgroup_processor_mode 1
		.amdhsa_memory_ordered 1
		.amdhsa_forward_progress 0
		.amdhsa_shared_vgpr_count 0
		.amdhsa_exception_fp_ieee_invalid_op 0
		.amdhsa_exception_fp_denorm_src 0
		.amdhsa_exception_fp_ieee_div_zero 0
		.amdhsa_exception_fp_ieee_overflow 0
		.amdhsa_exception_fp_ieee_underflow 0
		.amdhsa_exception_fp_ieee_inexact 0
		.amdhsa_exception_int_div_zero 0
	.end_amdhsa_kernel
	.section	.text._ZL33flash_attn_stream_k_fixup_generalILi128ELi1ELi16EEvPfPK15HIP_vector_typeIfLj2EEiiiiS1_IjLj3EES5_S5_S5_,"axG",@progbits,_ZL33flash_attn_stream_k_fixup_generalILi128ELi1ELi16EEvPfPK15HIP_vector_typeIfLj2EEiiiiS1_IjLj3EES5_S5_S5_,comdat
.Lfunc_end8:
	.size	_ZL33flash_attn_stream_k_fixup_generalILi128ELi1ELi16EEvPfPK15HIP_vector_typeIfLj2EEiiiiS1_IjLj3EES5_S5_S5_, .Lfunc_end8-_ZL33flash_attn_stream_k_fixup_generalILi128ELi1ELi16EEvPfPK15HIP_vector_typeIfLj2EEiiiiS1_IjLj3EES5_S5_S5_
                                        ; -- End function
	.section	.AMDGPU.csdata,"",@progbits
; Kernel info:
; codeLenInByte = 3200
; NumSgprs: 34
; NumVgprs: 19
; ScratchSize: 0
; MemoryBound: 0
; FloatMode: 240
; IeeeMode: 1
; LDSByteSize: 0 bytes/workgroup (compile time only)
; SGPRBlocks: 4
; VGPRBlocks: 2
; NumSGPRsForWavesPerEU: 34
; NumVGPRsForWavesPerEU: 19
; Occupancy: 16
; WaveLimiterHint : 0
; COMPUTE_PGM_RSRC2:SCRATCH_EN: 0
; COMPUTE_PGM_RSRC2:USER_SGPR: 13
; COMPUTE_PGM_RSRC2:TRAP_HANDLER: 0
; COMPUTE_PGM_RSRC2:TGID_X_EN: 1
; COMPUTE_PGM_RSRC2:TGID_Y_EN: 1
; COMPUTE_PGM_RSRC2:TGID_Z_EN: 1
; COMPUTE_PGM_RSRC2:TIDIG_COMP_CNT: 0
	.section	.text._ZL15flash_attn_tileILi192ELi128ELi4ELi8ELb0EEvPKcS1_S1_S1_S1_PKiPfP15HIP_vector_typeIfLj2EEffffjfiS5_IjLj3EEiiiiiiiiiiiliiliiiiil,"axG",@progbits,_ZL15flash_attn_tileILi192ELi128ELi4ELi8ELb0EEvPKcS1_S1_S1_S1_PKiPfP15HIP_vector_typeIfLj2EEffffjfiS5_IjLj3EEiiiiiiiiiiiliiliiiiil,comdat
	.globl	_ZL15flash_attn_tileILi192ELi128ELi4ELi8ELb0EEvPKcS1_S1_S1_S1_PKiPfP15HIP_vector_typeIfLj2EEffffjfiS5_IjLj3EEiiiiiiiiiiiliiliiiiil ; -- Begin function _ZL15flash_attn_tileILi192ELi128ELi4ELi8ELb0EEvPKcS1_S1_S1_S1_PKiPfP15HIP_vector_typeIfLj2EEffffjfiS5_IjLj3EEiiiiiiiiiiiliiliiiiil
	.p2align	8
	.type	_ZL15flash_attn_tileILi192ELi128ELi4ELi8ELb0EEvPKcS1_S1_S1_S1_PKiPfP15HIP_vector_typeIfLj2EEffffjfiS5_IjLj3EEiiiiiiiiiiiliiliiiiil,@function
_ZL15flash_attn_tileILi192ELi128ELi4ELi8ELb0EEvPKcS1_S1_S1_S1_PKiPfP15HIP_vector_typeIfLj2EEffffjfiS5_IjLj3EEiiiiiiiiiiiliiliiiiil: ; @_ZL15flash_attn_tileILi192ELi128ELi4ELi8ELb0EEvPKcS1_S1_S1_S1_PKiPfP15HIP_vector_typeIfLj2EEffffjfiS5_IjLj3EEiiiiiiiiiiiliiliiiiil
; %bb.0:
	s_clause 0x1
	s_load_b128 s[24:27], s[0:1], 0x5c
	s_load_b64 s[28:29], s[0:1], 0x80
	s_mov_b64 s[30:31], 0
	s_waitcnt lgkmcnt(0)
	s_ashr_i32 s2, s27, 31
	s_delay_alu instid0(SALU_CYCLE_1) | instskip(NEXT) | instid1(SALU_CYCLE_1)
	s_lshr_b32 s2, s2, 29
	s_add_i32 s2, s27, s2
	s_delay_alu instid0(SALU_CYCLE_1) | instskip(NEXT) | instid1(SALU_CYCLE_1)
	s_ashr_i32 s2, s2, 3
	v_cvt_f32_u32_e32 v1, s2
	s_sub_i32 s4, 0, s2
	s_delay_alu instid0(VALU_DEP_1) | instskip(SKIP_2) | instid1(VALU_DEP_1)
	v_rcp_iflag_f32_e32 v1, v1
	s_waitcnt_depctr 0xfff
	v_mul_f32_e32 v1, 0x4f7ffffe, v1
	v_cvt_u32_f32_e32 v1, v1
	s_delay_alu instid0(VALU_DEP_1) | instskip(NEXT) | instid1(VALU_DEP_1)
	v_readfirstlane_b32 s3, v1
	s_mul_i32 s4, s4, s3
	s_delay_alu instid0(SALU_CYCLE_1) | instskip(NEXT) | instid1(SALU_CYCLE_1)
	s_mul_hi_u32 s4, s3, s4
	s_add_i32 s3, s3, s4
	s_delay_alu instid0(SALU_CYCLE_1) | instskip(NEXT) | instid1(SALU_CYCLE_1)
	s_mul_hi_u32 s3, s15, s3
	s_mul_i32 s4, s3, s2
	s_add_i32 s5, s3, 1
	s_sub_i32 s4, s15, s4
	s_delay_alu instid0(SALU_CYCLE_1)
	s_sub_i32 s6, s4, s2
	s_cmp_ge_u32 s4, s2
	s_cselect_b32 s3, s5, s3
	s_cselect_b32 s4, s6, s4
	s_add_i32 s5, s3, 1
	s_cmp_ge_u32 s4, s2
	s_cselect_b32 s33, s5, s3
	s_abs_i32 s2, s29
	s_abs_i32 s7, s27
	v_cvt_f32_u32_e32 v1, s2
	s_sub_i32 s4, 0, s2
	s_lshl_b32 s5, s15, 3
	s_mul_i32 s6, s33, s27
	s_delay_alu instid0(VALU_DEP_1) | instskip(SKIP_3) | instid1(VALU_DEP_1)
	v_rcp_iflag_f32_e32 v1, v1
	s_sub_i32 s52, s5, s6
	s_waitcnt_depctr 0xfff
	v_mul_f32_e32 v1, 0x4f7ffffe, v1
	v_cvt_u32_f32_e32 v1, v1
	s_delay_alu instid0(VALU_DEP_1) | instskip(NEXT) | instid1(VALU_DEP_1)
	v_readfirstlane_b32 s3, v1
	s_mul_i32 s4, s4, s3
	s_delay_alu instid0(SALU_CYCLE_1) | instskip(NEXT) | instid1(SALU_CYCLE_1)
	s_mul_hi_u32 s4, s3, s4
	s_add_i32 s3, s3, s4
	s_xor_b32 s4, s27, s29
	s_mul_hi_u32 s3, s7, s3
	s_ashr_i32 s4, s4, 31
	s_mul_i32 s5, s3, s2
	s_add_i32 s6, s3, 1
	s_sub_i32 s5, s7, s5
	s_delay_alu instid0(SALU_CYCLE_1)
	s_sub_i32 s7, s5, s2
	s_cmp_ge_u32 s5, s2
	s_cselect_b32 s3, s6, s3
	s_cselect_b32 s5, s7, s5
	s_add_i32 s6, s3, 1
	s_cmp_ge_u32 s5, s2
	s_cselect_b32 s2, s6, s3
	s_delay_alu instid0(SALU_CYCLE_1) | instskip(NEXT) | instid1(SALU_CYCLE_1)
	s_xor_b32 s2, s2, s4
	s_sub_i32 s9, s2, s4
	s_clause 0x1
	s_load_b512 s[36:51], s[0:1], 0x0
	s_load_b64 s[2:3], s[0:1], 0xb8
	s_abs_i32 s8, s9
	s_delay_alu instid0(SALU_CYCLE_1) | instskip(NEXT) | instid1(VALU_DEP_1)
	v_cvt_f32_u32_e32 v1, s8
	v_rcp_iflag_f32_e32 v1, v1
	s_waitcnt_depctr 0xfff
	v_mul_f32_e32 v1, 0x4f7ffffe, v1
	s_waitcnt lgkmcnt(0)
	s_cmp_eq_u64 s[42:43], 0
	s_delay_alu instid0(VALU_DEP_1) | instskip(NEXT) | instid1(VALU_DEP_1)
	v_cvt_u32_f32_e32 v1, v1
	v_readfirstlane_b32 s10, v1
	s_cbranch_scc1 .LBB9_2
; %bb.1:
	s_abs_i32 s2, s2
	s_abs_i32 s6, s33
	v_cvt_f32_u32_e32 v1, s2
	s_sub_i32 s5, 0, s2
	s_delay_alu instid0(VALU_DEP_1) | instskip(SKIP_2) | instid1(VALU_DEP_1)
	v_rcp_iflag_f32_e32 v1, v1
	s_waitcnt_depctr 0xfff
	v_mul_f32_e32 v1, 0x4f7ffffe, v1
	v_cvt_u32_f32_e32 v1, v1
	s_delay_alu instid0(VALU_DEP_1) | instskip(NEXT) | instid1(VALU_DEP_1)
	v_readfirstlane_b32 s4, v1
	s_mul_i32 s5, s5, s4
	s_delay_alu instid0(SALU_CYCLE_1) | instskip(NEXT) | instid1(SALU_CYCLE_1)
	s_mul_hi_u32 s5, s4, s5
	s_add_i32 s7, s4, s5
	s_load_b64 s[4:5], s[0:1], 0xc8
	s_mul_hi_u32 s7, s6, s7
	s_delay_alu instid0(SALU_CYCLE_1) | instskip(NEXT) | instid1(SALU_CYCLE_1)
	s_mul_i32 s7, s7, s2
	s_sub_i32 s6, s6, s7
	s_ashr_i32 s7, s33, 31
	s_sub_i32 s11, s6, s2
	s_cmp_ge_u32 s6, s2
	s_cselect_b32 s6, s11, s6
	s_delay_alu instid0(SALU_CYCLE_1) | instskip(SKIP_2) | instid1(SALU_CYCLE_1)
	s_sub_i32 s11, s6, s2
	s_cmp_ge_u32 s6, s2
	s_cselect_b32 s2, s11, s6
	s_xor_b32 s2, s2, s7
	s_delay_alu instid0(SALU_CYCLE_1)
	s_sub_i32 s2, s2, s7
	s_waitcnt lgkmcnt(0)
	s_mul_i32 s5, s2, s5
	s_mul_hi_u32 s6, s2, s4
	s_ashr_i32 s7, s2, 31
	s_add_i32 s5, s6, s5
	s_mul_i32 s7, s7, s4
	s_mul_i32 s2, s2, s4
	s_add_i32 s5, s5, s7
	s_add_u32 s30, s42, s2
	s_addc_u32 s31, s43, s5
.LBB9_2:
	v_bfe_u32 v6, v0, 10, 10
	s_load_b128 s[4:7], s[0:1], 0x70
	v_and_b32_e32 v13, 0x3ff, v0
	s_delay_alu instid0(VALU_DEP_2) | instskip(SKIP_2) | instid1(VALU_DEP_3)
	v_lshrrev_b32_e32 v1, 1, v6
	v_lshlrev_b32_e32 v4, 2, v6
	v_mul_u32_u24_e32 v16, 0x180, v6
	v_lshl_add_u32 v12, s13, 2, v1
	s_delay_alu instid0(VALU_DEP_3) | instskip(NEXT) | instid1(VALU_DEP_2)
	v_and_b32_e32 v26, 4, v4
	v_mul_hi_u32 v1, s24, v12
	s_waitcnt lgkmcnt(0)
	s_mul_i32 s2, s33, s6
	s_mul_i32 s6, s52, s5
	s_delay_alu instid0(VALU_DEP_1)
	v_add_nc_u32_e32 v1, v12, v1
	s_ashr_i32 s7, s2, 31
	s_add_u32 s2, s36, s2
	s_addc_u32 s7, s37, s7
	s_ashr_i32 s11, s6, 31
	v_lshrrev_b32_e32 v1, s25, v1
	s_add_u32 s2, s2, s6
	s_addc_u32 s6, s7, s11
	s_ashr_i32 s7, s4, 31
	s_ashr_i32 s17, s5, 31
	v_mul_lo_u32 v1, v1, s26
	v_alignbit_b32 v3, s7, s4, 2
	s_lshr_b32 s4, s7, 2
	s_mov_b32 s16, s5
	s_delay_alu instid0(VALU_DEP_2) | instskip(NEXT) | instid1(VALU_DEP_1)
	v_sub_nc_u32_e32 v7, v12, v1
	v_mad_u64_u32 v[1:2], null, v3, v7, 0
	s_delay_alu instid0(VALU_DEP_1) | instskip(SKIP_2) | instid1(SALU_CYCLE_1)
	v_mad_u64_u32 v[8:9], null, s4, v7, v[2:3]
	v_alignbit_b32 v3, s17, s5, 2
	s_lshr_b32 s4, s17, 2
	v_mul_lo_u32 v5, s4, v26
	s_lshr_b64 s[4:5], s[16:17], 2
	s_delay_alu instid0(VALU_DEP_3) | instskip(SKIP_1) | instid1(VALU_DEP_2)
	v_mov_b32_e32 v2, v8
	v_mad_u64_u32 v[8:9], null, v3, v26, 0
	v_lshlrev_b64 v[0:1], 2, v[1:2]
	v_lshlrev_b32_e32 v2, 4, v13
	s_delay_alu instid0(VALU_DEP_3) | instskip(NEXT) | instid1(VALU_DEP_3)
	v_or_b32_e32 v9, v9, v5
	v_add_co_u32 v3, vcc_lo, s2, v0
	s_delay_alu instid0(VALU_DEP_4) | instskip(NEXT) | instid1(VALU_DEP_3)
	v_add_co_ci_u32_e32 v5, vcc_lo, s6, v1, vcc_lo
	v_lshlrev_b64 v[0:1], 2, v[8:9]
	s_delay_alu instid0(VALU_DEP_3) | instskip(NEXT) | instid1(VALU_DEP_3)
	v_add_co_u32 v2, vcc_lo, v3, v2
	v_add_co_ci_u32_e32 v3, vcc_lo, 0, v5, vcc_lo
	s_load_b32 s6, s[0:1], 0x40
	s_delay_alu instid0(VALU_DEP_2) | instskip(NEXT) | instid1(VALU_DEP_2)
	v_add_co_u32 v0, vcc_lo, v2, v0
	v_add_co_ci_u32_e32 v1, vcc_lo, v3, v1, vcc_lo
	v_lshlrev_b32_e32 v5, 1, v13
	v_cmp_gt_u32_e32 vcc_lo, 16, v13
	global_load_b128 v[8:11], v[0:1], off
	s_waitcnt vmcnt(0) lgkmcnt(0)
	v_fma_mixlo_f16 v15, v10, s6, 0
	v_fma_mixlo_f16 v14, v8, s6, 0
	v_add_lshl_u32 v8, v16, v5, 2
	s_delay_alu instid0(VALU_DEP_3) | instskip(NEXT) | instid1(VALU_DEP_3)
	v_fma_mixhi_f16 v15, v11, s6, 0
	v_fma_mixhi_f16 v14, v9, s6, 0
	ds_store_b64 v8, v[14:15]
	s_and_saveexec_b32 s2, vcc_lo
	s_cbranch_execz .LBB9_4
; %bb.3:
	global_load_b128 v[14:17], v[0:1], off offset:512
	s_waitcnt vmcnt(0)
	v_fma_mixlo_f16 v1, v16, s6, 0
	v_fma_mixlo_f16 v0, v14, s6, 0
	s_delay_alu instid0(VALU_DEP_2) | instskip(NEXT) | instid1(VALU_DEP_2)
	v_fma_mixhi_f16 v1, v17, s6, 0
	v_fma_mixhi_f16 v0, v15, s6, 0
	ds_store_b64 v8, v[0:1] offset:256
.LBB9_4:
	s_or_b32 exec_lo, exec_lo, s2
	v_or_b32_e32 v14, 1, v4
	s_delay_alu instid0(VALU_DEP_1) | instskip(SKIP_1) | instid1(VALU_DEP_2)
	v_and_b32_e32 v10, 5, v14
	v_mul_u32_u24_e32 v16, 0x60, v14
	v_mad_u64_u32 v[0:1], null, s4, v10, 0
	s_delay_alu instid0(VALU_DEP_2) | instskip(NEXT) | instid1(VALU_DEP_2)
	v_add_lshl_u32 v5, v16, v5, 2
	v_mad_u64_u32 v[8:9], null, s5, v10, v[1:2]
	s_delay_alu instid0(VALU_DEP_1) | instskip(NEXT) | instid1(VALU_DEP_1)
	v_mov_b32_e32 v1, v8
	v_lshlrev_b64 v[0:1], 2, v[0:1]
	s_delay_alu instid0(VALU_DEP_1) | instskip(NEXT) | instid1(VALU_DEP_1)
	v_add_co_u32 v0, s2, v2, v0
	v_add_co_ci_u32_e64 v1, s2, v3, v1, s2
	global_load_b128 v[8:11], v[0:1], off
	s_waitcnt vmcnt(0)
	v_fma_mixlo_f16 v15, v10, s6, 0
	v_fma_mixlo_f16 v14, v8, s6, 0
	s_delay_alu instid0(VALU_DEP_2) | instskip(NEXT) | instid1(VALU_DEP_2)
	v_fma_mixhi_f16 v15, v11, s6, 0
	v_fma_mixhi_f16 v14, v9, s6, 0
	ds_store_b64 v5, v[14:15]
	s_and_saveexec_b32 s2, vcc_lo
	s_cbranch_execz .LBB9_6
; %bb.5:
	global_load_b128 v[8:11], v[0:1], off offset:512
	s_waitcnt vmcnt(0)
	v_fma_mixlo_f16 v1, v10, s6, 0
	v_fma_mixlo_f16 v0, v8, s6, 0
	s_delay_alu instid0(VALU_DEP_2) | instskip(NEXT) | instid1(VALU_DEP_2)
	v_fma_mixhi_f16 v1, v11, s6, 0
	v_fma_mixhi_f16 v0, v9, s6, 0
	ds_store_b64 v5, v[0:1] offset:256
.LBB9_6:
	s_or_b32 exec_lo, exec_lo, s2
	v_or_b32_e32 v0, 2, v4
	s_delay_alu instid0(VALU_DEP_1) | instskip(NEXT) | instid1(VALU_DEP_1)
	v_and_b32_e32 v10, 6, v0
	v_mad_u64_u32 v[0:1], null, s4, v10, 0
	s_delay_alu instid0(VALU_DEP_1) | instskip(NEXT) | instid1(VALU_DEP_1)
	v_mad_u64_u32 v[8:9], null, s5, v10, v[1:2]
	v_mov_b32_e32 v1, v8
	s_delay_alu instid0(VALU_DEP_1) | instskip(NEXT) | instid1(VALU_DEP_1)
	v_lshlrev_b64 v[0:1], 2, v[0:1]
	v_add_co_u32 v0, s2, v2, v0
	s_delay_alu instid0(VALU_DEP_1) | instskip(SKIP_4) | instid1(VALU_DEP_2)
	v_add_co_ci_u32_e64 v1, s2, v3, v1, s2
	global_load_b128 v[8:11], v[0:1], off
	s_waitcnt vmcnt(0)
	v_fma_mixlo_f16 v15, v10, s6, 0
	v_fma_mixlo_f16 v14, v8, s6, 0
	v_fma_mixhi_f16 v15, v11, s6, 0
	s_delay_alu instid0(VALU_DEP_2)
	v_fma_mixhi_f16 v14, v9, s6, 0
	ds_store_b64 v5, v[14:15] offset:384
	s_and_saveexec_b32 s2, vcc_lo
	s_cbranch_execz .LBB9_8
; %bb.7:
	global_load_b128 v[8:11], v[0:1], off offset:512
	s_waitcnt vmcnt(0)
	v_fma_mixlo_f16 v1, v10, s6, 0
	v_fma_mixlo_f16 v0, v8, s6, 0
	s_delay_alu instid0(VALU_DEP_2) | instskip(NEXT) | instid1(VALU_DEP_2)
	v_fma_mixhi_f16 v1, v11, s6, 0
	v_fma_mixhi_f16 v0, v9, s6, 0
	ds_store_b64 v5, v[0:1] offset:640
.LBB9_8:
	s_or_b32 exec_lo, exec_lo, s2
	v_or_b32_e32 v0, 3, v4
	s_delay_alu instid0(VALU_DEP_1) | instskip(NEXT) | instid1(VALU_DEP_1)
	v_and_b32_e32 v10, 7, v0
	v_mad_u64_u32 v[0:1], null, s4, v10, 0
	s_delay_alu instid0(VALU_DEP_1) | instskip(NEXT) | instid1(VALU_DEP_1)
	v_mad_u64_u32 v[8:9], null, s5, v10, v[1:2]
	v_mov_b32_e32 v1, v8
	s_delay_alu instid0(VALU_DEP_1) | instskip(NEXT) | instid1(VALU_DEP_1)
	v_lshlrev_b64 v[0:1], 2, v[0:1]
	v_add_co_u32 v0, s2, v2, v0
	s_delay_alu instid0(VALU_DEP_1) | instskip(SKIP_4) | instid1(VALU_DEP_2)
	v_add_co_ci_u32_e64 v1, s2, v3, v1, s2
	global_load_b128 v[8:11], v[0:1], off
	s_waitcnt vmcnt(0)
	v_fma_mixlo_f16 v3, v10, s6, 0
	v_fma_mixlo_f16 v2, v8, s6, 0
	v_fma_mixhi_f16 v3, v11, s6, 0
	s_delay_alu instid0(VALU_DEP_2)
	v_fma_mixhi_f16 v2, v9, s6, 0
	ds_store_b64 v5, v[2:3] offset:768
	s_and_saveexec_b32 s2, vcc_lo
	s_cbranch_execz .LBB9_10
; %bb.9:
	global_load_b128 v[0:3], v[0:1], off offset:512
	s_waitcnt vmcnt(0)
	v_fma_mixlo_f16 v9, v2, s6, 0
	v_fma_mixlo_f16 v8, v0, s6, 0
	s_delay_alu instid0(VALU_DEP_2) | instskip(NEXT) | instid1(VALU_DEP_2)
	v_fma_mixhi_f16 v9, v3, s6, 0
	v_fma_mixhi_f16 v8, v1, s6, 0
	ds_store_b64 v5, v[8:9] offset:1024
.LBB9_10:
	s_or_b32 exec_lo, exec_lo, s2
	s_cmp_eq_u64 s[46:47], 0
	s_waitcnt lgkmcnt(0)
	s_barrier
	buffer_gl0_inv
	s_cbranch_scc1 .LBB9_12
; %bb.11:
	s_load_b32 s2, s[0:1], 0xd0
	s_mov_b32 s5, 0
	s_waitcnt lgkmcnt(0)
	s_mul_i32 s2, s2, s33
	s_delay_alu instid0(SALU_CYCLE_1) | instskip(NEXT) | instid1(SALU_CYCLE_1)
	s_add_i32 s4, s2, s13
	s_lshl_b64 s[4:5], s[4:5], 2
	s_delay_alu instid0(SALU_CYCLE_1)
	s_add_u32 s4, s46, s4
	s_addc_u32 s5, s47, s5
	s_load_b32 s28, s[4:5], 0x0
.LBB9_12:
	v_mbcnt_lo_u32_b32 v11, -1, 0
	s_lshl_b32 s29, s14, 6
	s_waitcnt lgkmcnt(0)
	s_cmp_lt_i32 s29, s28
	s_cbranch_scc1 .LBB9_14
; %bb.13:
	v_mbcnt_lo_u32_b32 v8, -1, 0
	v_mov_b32_e32 v5, 32
	s_mov_b32 s2, 0
	s_mov_b32 s4, 0xfeffffff
	s_delay_alu instid0(VALU_DEP_2)
	v_xor_b32_e32 v32, 16, v8
	v_xor_b32_e32 v31, 8, v8
	;; [unrolled: 1-line block ×5, first 2 shown]
	s_branch .LBB9_15
.LBB9_14:
	s_mov_b32 s2, -1
                                        ; implicit-def: $sgpr4
                                        ; implicit-def: $vgpr8
                                        ; implicit-def: $vgpr5
                                        ; implicit-def: $vgpr32
                                        ; implicit-def: $vgpr31
                                        ; implicit-def: $vgpr30
                                        ; implicit-def: $vgpr29
                                        ; implicit-def: $vgpr28
.LBB9_15:
	s_delay_alu instid0(SALU_CYCLE_1) | instskip(SKIP_3) | instid1(VALU_DEP_4)
	v_cndmask_b32_e64 v0, 0, 1, s2
	v_dual_mov_b32 v3, s4 :: v_dual_mov_b32 v2, s4
	v_lshlrev_b32_e32 v27, 2, v13
	v_dual_mov_b32 v33, s2 :: v_dual_mov_b32 v34, s2
	v_cmp_ne_u32_e32 vcc_lo, 1, v0
	v_dual_mov_b32 v55, s2 :: v_dual_mov_b32 v20, s2
	v_dual_mov_b32 v1, s4 :: v_dual_mov_b32 v56, s2
	;; [unrolled: 1-line block ×6, first 2 shown]
	s_cbranch_vccnz .LBB9_19
; %bb.16:
	s_clause 0x1
	s_load_b128 s[4:7], s[0:1], 0x98
	s_load_b64 s[12:13], s[0:1], 0x8c
	s_sub_i32 s2, 0, s8
	v_lshrrev_b32_e32 v0, 3, v13
	v_and_b32_e32 v3, 28, v27
	s_mul_i32 s2, s2, s10
	s_abs_i32 s11, s52
	s_mul_hi_u32 s2, s10, s2
	v_dual_mov_b32 v49, 0 :: v_dual_add_nc_u32 v0, v0, v4
	v_dual_mov_b32 v50, 0 :: v_dual_lshlrev_b32 v1, 2, v3
	s_add_i32 s10, s10, s2
	s_ashr_i32 s2, s3, 1
	s_mul_hi_u32 s3, s11, s10
	s_ashr_i32 s10, s33, 31
	v_mad_u32_u24 v4, 0x90, v0, v1
	s_ashr_i32 s15, s52, 31
	s_ashr_i32 s9, s9, 31
	s_load_b64 s[16:17], s[0:1], 0xa8
	s_waitcnt lgkmcnt(0)
	s_ashr_i32 s36, s6, 2
	s_ashr_i32 s37, s12, 2
	s_mul_i32 s5, s33, s5
	s_mul_hi_u32 s6, s33, s4
	s_mul_i32 s12, s10, s4
	s_add_i32 s5, s6, s5
	v_mul_lo_u32 v1, s37, v0
	v_lshrrev_b32_e32 v0, 4, v13
	s_mul_i32 s4, s33, s4
	s_mul_i32 s18, s3, s8
	s_add_i32 s5, s5, s12
	s_add_u32 s4, s38, s4
	s_addc_u32 s5, s39, s5
	s_xor_b32 s6, s15, s9
	s_sub_i32 s9, s11, s18
	v_lshl_add_u32 v0, v6, 1, v0
	s_add_i32 s11, s3, 1
	s_sub_i32 s12, s9, s8
	s_cmp_ge_u32 s9, s8
	v_dual_mov_b32 v51, 0 :: v_dual_and_b32 v18, 60, v27
	s_cselect_b32 s3, s11, s3
	s_cselect_b32 s9, s12, s9
	v_mul_lo_u32 v14, s36, v0
	s_add_i32 s11, s3, 1
	s_cmp_ge_u32 s9, s8
	v_lshl_add_u32 v8, s37, 5, v1
	s_cselect_b32 s3, s11, s3
	v_dual_mov_b32 v52, 0 :: v_dual_add_nc_u32 v35, 0x3000, v4
	s_xor_b32 s3, s3, s6
	s_delay_alu instid0(VALU_DEP_3)
	v_lshl_add_u32 v16, s36, 4, v14
	s_sub_i32 s3, s3, s6
	v_dual_mov_b32 v53, 0 :: v_dual_add_nc_u32 v36, 0x4200, v4
	v_dual_mov_b32 v55, 0 :: v_dual_lshlrev_b32 v4, 2, v18
	s_mul_i32 s6, s3, s13
	s_mul_i32 s8, s33, s17
	s_mul_hi_u32 s9, s33, s16
	s_ashr_i32 s12, s6, 31
	s_add_u32 s38, s4, s6
	v_ashrrev_i32_e32 v2, 31, v1
	v_ashrrev_i32_e32 v9, 31, v8
	v_ashrrev_i32_e32 v15, 31, v14
	v_ashrrev_i32_e32 v17, 31, v16
	s_mul_i32 s10, s10, s16
	s_addc_u32 s39, s5, s12
	s_add_i32 s4, s9, s8
	v_lshl_or_b32 v0, v0, 8, v4
	v_lshl_add_u32 v39, v6, 9, 0x5400
	v_dual_mov_b32 v54, 0 :: v_dual_lshlrev_b32 v19, 3, v13
	s_mul_i32 s11, s33, s16
	s_add_i32 s4, s4, s10
	s_mul_i32 s3, s3, s7
	v_mad_u64_u32 v[4:5], null, v7, s2, v[13:14]
	s_add_u32 s5, s40, s11
	s_addc_u32 s4, s41, s4
	s_ashr_i32 s6, s3, 31
	v_mul_u32_u24_e32 v38, 0x600, v6
	v_lshlrev_b64 v[5:6], 2, v[1:2]
	v_lshlrev_b64 v[7:8], 2, v[8:9]
	;; [unrolled: 1-line block ×4, first 2 shown]
	s_add_u32 s40, s5, s3
	v_mul_u32_u24_e32 v37, 0x90, v13
	v_dual_mov_b32 v21, 0 :: v_dual_add_nc_u32 v40, 0x3000, v0
	v_dual_mov_b32 v56, 0 :: v_dual_add_nc_u32 v41, 0x4000, v0
	v_mov_b32_e32 v0, 0xfeffffff
	v_dual_mov_b32 v1, 0xfeffffff :: v_dual_lshlrev_b32 v42, 2, v3
	v_xor_b32_e32 v32, 16, v11
	v_xor_b32_e32 v31, 8, v11
	;; [unrolled: 1-line block ×5, first 2 shown]
	v_dual_mov_b32 v2, 0xfeffffff :: v_dual_add_nc_u32 v43, v39, v19
	v_dual_mov_b32 v3, 0xfeffffff :: v_dual_lshlrev_b32 v44, 2, v18
	v_dual_mov_b32 v20, 0 :: v_dual_add_nc_u32 v45, 0x3000, v19
	v_dual_mov_b32 v33, 0 :: v_dual_add_nc_u32 v46, 0x3800, v19
	;; [unrolled: 1-line block ×3, first 2 shown]
	v_add_nc_u32_e32 v48, 0x4800, v19
	s_addc_u32 s41, s4, s6
	s_add_u32 s34, s0, 0xd0
	s_addc_u32 s35, s1, 0
.LBB9_17:                               ; =>This Inner Loop Header: Depth=1
	s_mul_hi_i32 s7, s29, s37
	s_mul_i32 s6, s29, s37
	v_cmp_gt_i32_e64 s3, 32, v30
	v_cmp_gt_i32_e64 s4, 32, v29
	;; [unrolled: 1-line block ×3, first 2 shown]
	v_dual_mov_b32 v61, v1 :: v_dual_mov_b32 v62, v0
	v_add_nc_u32_e32 v0, s29, v4
	v_cmp_gt_i32_e64 s2, 32, v31
	v_cmp_gt_i32_e32 vcc_lo, 32, v32
	s_lshl_b64 s[6:7], s[6:7], 2
	s_mul_hi_i32 s9, s29, s36
	s_mul_i32 s8, s29, s36
	s_add_u32 s6, s38, s6
	v_cndmask_b32_e64 v16, v11, v30, s3
	v_cndmask_b32_e64 v17, v11, v29, s4
	;; [unrolled: 1-line block ×3, first 2 shown]
	s_addc_u32 s3, s39, s7
	s_lshl_b64 s[4:5], s[8:9], 2
	v_dual_mov_b32 v57, v21 :: v_dual_mov_b32 v58, v20
	v_dual_mov_b32 v59, v3 :: v_dual_mov_b32 v60, v2
	v_cndmask_b32_e64 v3, v11, v31, s2
	v_ashrrev_i32_e32 v1, 31, v0
	v_add_co_u32 v20, s2, s6, v5
	v_dual_cndmask_b32 v2, v11, v32 :: v_dual_lshlrev_b32 v71, 2, v18
	v_add_co_u32 v19, vcc_lo, s6, v7
	s_add_u32 s4, s40, s4
	v_add_co_ci_u32_e64 v21, s2, s3, v6, s2
	v_add_co_ci_u32_e32 v23, vcc_lo, s3, v8, vcc_lo
	s_addc_u32 s3, s41, s5
	v_add_co_u32 v77, s2, s4, v9
	v_add_co_u32 v76, vcc_lo, s4, v14
	v_lshlrev_b32_e32 v73, 2, v16
	v_lshlrev_b32_e32 v72, 2, v17
	v_lshlrev_b64 v[16:17], 1, v[0:1]
	v_add_co_ci_u32_e64 v1, s2, s3, v10, s2
	v_add_co_ci_u32_e32 v18, vcc_lo, s3, v15, vcc_lo
	v_add_co_u32 v24, s2, v20, v42
	v_add_co_u32 v22, vcc_lo, v19, v42
	v_add_co_ci_u32_e64 v25, s2, 0, v21, s2
	v_add_co_ci_u32_e32 v23, vcc_lo, 0, v23, vcc_lo
	v_lshlrev_b32_e32 v75, 2, v2
	v_add_co_u32 v0, vcc_lo, v76, v44
	v_add_co_u32 v2, s2, v77, v44
	s_clause 0x1
	global_load_b128 v[76:79], v[24:25], off
	global_load_b128 v[80:83], v[22:23], off
	s_or_b32 s6, s29, 32
	v_lshlrev_b32_e32 v74, 2, v3
	s_mul_hi_i32 s5, s6, s36
	s_mul_i32 s4, s6, s36
	v_add_co_ci_u32_e64 v3, s2, 0, v1, s2
	s_lshl_b64 s[4:5], s[4:5], 2
	v_add_co_ci_u32_e32 v1, vcc_lo, 0, v18, vcc_lo
	s_add_u32 s3, s40, s4
	s_addc_u32 s4, s41, s5
	v_add_co_u32 v20, vcc_lo, s30, v16
	v_add_co_u32 v18, s2, s3, v9
	v_add_co_u32 v16, s3, s3, v14
	v_add_co_ci_u32_e32 v21, vcc_lo, s31, v17, vcc_lo
	v_add_co_ci_u32_e64 v17, vcc_lo, s4, v10, s2
	v_add_co_ci_u32_e64 v84, vcc_lo, s4, v15, s3
	s_delay_alu instid0(VALU_DEP_4) | instskip(SKIP_1) | instid1(VALU_DEP_1)
	v_add_co_u32 v16, vcc_lo, v16, v44
	v_add_co_u32 v18, s2, v18, v44
	v_add_co_ci_u32_e64 v19, s2, 0, v17, s2
	s_delay_alu instid0(VALU_DEP_4)
	v_add_co_ci_u32_e32 v17, vcc_lo, 0, v84, vcc_lo
	v_dual_mov_b32 v63, 0 :: v_dual_mov_b32 v64, 0
	v_dual_mov_b32 v65, 0 :: v_dual_mov_b32 v66, 0
	;; [unrolled: 1-line block ×4, first 2 shown]
	s_waitcnt vmcnt(1)
	ds_store_b128 v35, v[76:79]
	s_waitcnt vmcnt(0)
	ds_store_b128 v36, v[80:83]
	s_waitcnt lgkmcnt(0)
	s_barrier
	buffer_gl0_inv
	ds_load_b128 v[76:79], v37 offset:12288
	ds_load_b128 v[80:83], v38
	ds_load_b128 v[84:87], v38 offset:384
	ds_load_b128 v[88:91], v38 offset:768
	;; [unrolled: 1-line block ×4, first 2 shown]
	s_waitcnt lgkmcnt(4)
	;;#ASMSTART
	v_dot2_f32_f16 v63, v76, v80, v63
	;;#ASMEND
	;;#ASMSTART
	v_dot2_f32_f16 v63, v77, v81, v63
	;;#ASMEND
	;;#ASMSTART
	v_dot2_f32_f16 v63, v78, v82, v63
	;;#ASMEND
	;;#ASMSTART
	v_dot2_f32_f16 v63, v79, v83, v63
	;;#ASMEND
	s_waitcnt lgkmcnt(3)
	;;#ASMSTART
	v_dot2_f32_f16 v64, v76, v84, v64
	;;#ASMEND
	;;#ASMSTART
	v_dot2_f32_f16 v64, v77, v85, v64
	;;#ASMEND
	;;#ASMSTART
	v_dot2_f32_f16 v64, v78, v86, v64
	;;#ASMEND
	;;#ASMSTART
	v_dot2_f32_f16 v64, v79, v87, v64
	;;#ASMEND
	;; [unrolled: 13-line block ×5, first 2 shown]
	;;#ASMSTART
	v_dot2_f32_f16 v68, v96, v84, v68
	;;#ASMEND
	;;#ASMSTART
	v_dot2_f32_f16 v68, v97, v85, v68
	;;#ASMEND
	;; [unrolled: 3-line block ×12, first 2 shown]
	ds_load_b128 v[76:79], v37 offset:12304
	ds_load_b128 v[80:83], v38 offset:16
	;; [unrolled: 1-line block ×6, first 2 shown]
	s_waitcnt lgkmcnt(4)
	;;#ASMSTART
	v_dot2_f32_f16 v63, v76, v80, v63
	;;#ASMEND
	;;#ASMSTART
	v_dot2_f32_f16 v63, v77, v81, v63
	;;#ASMEND
	;;#ASMSTART
	v_dot2_f32_f16 v63, v78, v82, v63
	;;#ASMEND
	;;#ASMSTART
	v_dot2_f32_f16 v63, v79, v83, v63
	;;#ASMEND
	s_waitcnt lgkmcnt(3)
	;;#ASMSTART
	v_dot2_f32_f16 v64, v76, v84, v64
	;;#ASMEND
	;;#ASMSTART
	v_dot2_f32_f16 v64, v77, v85, v64
	;;#ASMEND
	;;#ASMSTART
	v_dot2_f32_f16 v64, v78, v86, v64
	;;#ASMEND
	;;#ASMSTART
	v_dot2_f32_f16 v64, v79, v87, v64
	;;#ASMEND
	;; [unrolled: 13-line block ×5, first 2 shown]
	;;#ASMSTART
	v_dot2_f32_f16 v68, v96, v84, v68
	;;#ASMEND
	;;#ASMSTART
	v_dot2_f32_f16 v68, v97, v85, v68
	;;#ASMEND
	;; [unrolled: 3-line block ×12, first 2 shown]
	ds_load_b128 v[76:79], v37 offset:12320
	ds_load_b128 v[80:83], v38 offset:32
	;; [unrolled: 1-line block ×6, first 2 shown]
	s_waitcnt lgkmcnt(4)
	;;#ASMSTART
	v_dot2_f32_f16 v63, v76, v80, v63
	;;#ASMEND
	;;#ASMSTART
	v_dot2_f32_f16 v63, v77, v81, v63
	;;#ASMEND
	;;#ASMSTART
	v_dot2_f32_f16 v63, v78, v82, v63
	;;#ASMEND
	;;#ASMSTART
	v_dot2_f32_f16 v63, v79, v83, v63
	;;#ASMEND
	s_waitcnt lgkmcnt(3)
	;;#ASMSTART
	v_dot2_f32_f16 v64, v76, v84, v64
	;;#ASMEND
	;;#ASMSTART
	v_dot2_f32_f16 v64, v77, v85, v64
	;;#ASMEND
	;;#ASMSTART
	v_dot2_f32_f16 v64, v78, v86, v64
	;;#ASMEND
	;;#ASMSTART
	v_dot2_f32_f16 v64, v79, v87, v64
	;;#ASMEND
	;; [unrolled: 13-line block ×5, first 2 shown]
	;;#ASMSTART
	v_dot2_f32_f16 v68, v96, v84, v68
	;;#ASMEND
	;;#ASMSTART
	v_dot2_f32_f16 v68, v97, v85, v68
	;;#ASMEND
	;; [unrolled: 3-line block ×12, first 2 shown]
	ds_load_b128 v[76:79], v37 offset:12336
	ds_load_b128 v[80:83], v38 offset:48
	;; [unrolled: 1-line block ×6, first 2 shown]
	s_waitcnt lgkmcnt(4)
	;;#ASMSTART
	v_dot2_f32_f16 v63, v76, v80, v63
	;;#ASMEND
	;;#ASMSTART
	v_dot2_f32_f16 v63, v77, v81, v63
	;;#ASMEND
	;;#ASMSTART
	v_dot2_f32_f16 v63, v78, v82, v63
	;;#ASMEND
	;;#ASMSTART
	v_dot2_f32_f16 v63, v79, v83, v63
	;;#ASMEND
	s_waitcnt lgkmcnt(3)
	;;#ASMSTART
	v_dot2_f32_f16 v64, v76, v84, v64
	;;#ASMEND
	;;#ASMSTART
	v_dot2_f32_f16 v64, v77, v85, v64
	;;#ASMEND
	;;#ASMSTART
	v_dot2_f32_f16 v64, v78, v86, v64
	;;#ASMEND
	;;#ASMSTART
	v_dot2_f32_f16 v64, v79, v87, v64
	;;#ASMEND
	;; [unrolled: 13-line block ×5, first 2 shown]
	;;#ASMSTART
	v_dot2_f32_f16 v68, v96, v84, v68
	;;#ASMEND
	;;#ASMSTART
	v_dot2_f32_f16 v68, v97, v85, v68
	;;#ASMEND
	;; [unrolled: 3-line block ×12, first 2 shown]
	ds_load_b128 v[76:79], v37 offset:12352
	ds_load_b128 v[80:83], v38 offset:64
	;; [unrolled: 1-line block ×6, first 2 shown]
	s_waitcnt lgkmcnt(4)
	;;#ASMSTART
	v_dot2_f32_f16 v63, v76, v80, v63
	;;#ASMEND
	;;#ASMSTART
	v_dot2_f32_f16 v63, v77, v81, v63
	;;#ASMEND
	;;#ASMSTART
	v_dot2_f32_f16 v63, v78, v82, v63
	;;#ASMEND
	;;#ASMSTART
	v_dot2_f32_f16 v63, v79, v83, v63
	;;#ASMEND
	s_waitcnt lgkmcnt(3)
	;;#ASMSTART
	v_dot2_f32_f16 v64, v76, v84, v64
	;;#ASMEND
	;;#ASMSTART
	v_dot2_f32_f16 v64, v77, v85, v64
	;;#ASMEND
	;;#ASMSTART
	v_dot2_f32_f16 v64, v78, v86, v64
	;;#ASMEND
	;;#ASMSTART
	v_dot2_f32_f16 v64, v79, v87, v64
	;;#ASMEND
	;; [unrolled: 13-line block ×5, first 2 shown]
	;;#ASMSTART
	v_dot2_f32_f16 v68, v96, v84, v68
	;;#ASMEND
	;;#ASMSTART
	v_dot2_f32_f16 v68, v97, v85, v68
	;;#ASMEND
	;;#ASMSTART
	v_dot2_f32_f16 v68, v98, v86, v68
	;;#ASMEND
	;;#ASMSTART
	v_dot2_f32_f16 v68, v99, v87, v68
	;;#ASMEND
	;;#ASMSTART
	v_dot2_f32_f16 v69, v96, v88, v69
	;;#ASMEND
	;;#ASMSTART
	v_dot2_f32_f16 v69, v97, v89, v69
	;;#ASMEND
	;;#ASMSTART
	v_dot2_f32_f16 v69, v98, v90, v69
	;;#ASMEND
	;;#ASMSTART
	v_dot2_f32_f16 v69, v99, v91, v69
	;;#ASMEND
	;;#ASMSTART
	v_dot2_f32_f16 v70, v96, v92, v70
	;;#ASMEND
	;;#ASMSTART
	v_dot2_f32_f16 v70, v97, v93, v70
	;;#ASMEND
	;;#ASMSTART
	v_dot2_f32_f16 v70, v98, v94, v70
	;;#ASMEND
	;;#ASMSTART
	v_dot2_f32_f16 v70, v99, v95, v70
	;;#ASMEND
	ds_load_b128 v[76:79], v37 offset:12368
	ds_load_b128 v[80:83], v38 offset:80
	;; [unrolled: 1-line block ×6, first 2 shown]
	s_waitcnt lgkmcnt(4)
	;;#ASMSTART
	v_dot2_f32_f16 v63, v76, v80, v63
	;;#ASMEND
	;;#ASMSTART
	v_dot2_f32_f16 v63, v77, v81, v63
	;;#ASMEND
	;;#ASMSTART
	v_dot2_f32_f16 v63, v78, v82, v63
	;;#ASMEND
	;;#ASMSTART
	v_dot2_f32_f16 v63, v79, v83, v63
	;;#ASMEND
	s_waitcnt lgkmcnt(3)
	;;#ASMSTART
	v_dot2_f32_f16 v64, v76, v84, v64
	;;#ASMEND
	;;#ASMSTART
	v_dot2_f32_f16 v64, v77, v85, v64
	;;#ASMEND
	;;#ASMSTART
	v_dot2_f32_f16 v64, v78, v86, v64
	;;#ASMEND
	;;#ASMSTART
	v_dot2_f32_f16 v64, v79, v87, v64
	;;#ASMEND
	;; [unrolled: 13-line block ×5, first 2 shown]
	;;#ASMSTART
	v_dot2_f32_f16 v68, v96, v84, v68
	;;#ASMEND
	;;#ASMSTART
	v_dot2_f32_f16 v68, v97, v85, v68
	;;#ASMEND
	;; [unrolled: 3-line block ×12, first 2 shown]
	ds_load_b128 v[76:79], v37 offset:12384
	ds_load_b128 v[80:83], v38 offset:96
	;; [unrolled: 1-line block ×6, first 2 shown]
	s_waitcnt lgkmcnt(4)
	;;#ASMSTART
	v_dot2_f32_f16 v63, v76, v80, v63
	;;#ASMEND
	;;#ASMSTART
	v_dot2_f32_f16 v63, v77, v81, v63
	;;#ASMEND
	;;#ASMSTART
	v_dot2_f32_f16 v63, v78, v82, v63
	;;#ASMEND
	;;#ASMSTART
	v_dot2_f32_f16 v63, v79, v83, v63
	;;#ASMEND
	s_waitcnt lgkmcnt(3)
	;;#ASMSTART
	v_dot2_f32_f16 v64, v76, v84, v64
	;;#ASMEND
	;;#ASMSTART
	v_dot2_f32_f16 v64, v77, v85, v64
	;;#ASMEND
	;;#ASMSTART
	v_dot2_f32_f16 v64, v78, v86, v64
	;;#ASMEND
	;;#ASMSTART
	v_dot2_f32_f16 v64, v79, v87, v64
	;;#ASMEND
	;; [unrolled: 13-line block ×5, first 2 shown]
	;;#ASMSTART
	v_dot2_f32_f16 v68, v96, v84, v68
	;;#ASMEND
	;;#ASMSTART
	v_dot2_f32_f16 v68, v97, v85, v68
	;;#ASMEND
	;; [unrolled: 3-line block ×12, first 2 shown]
	ds_load_b128 v[76:79], v37 offset:12400
	ds_load_b128 v[80:83], v38 offset:112
	;; [unrolled: 1-line block ×6, first 2 shown]
	s_waitcnt lgkmcnt(4)
	;;#ASMSTART
	v_dot2_f32_f16 v63, v76, v80, v63
	;;#ASMEND
	;;#ASMSTART
	v_dot2_f32_f16 v63, v77, v81, v63
	;;#ASMEND
	;;#ASMSTART
	v_dot2_f32_f16 v63, v78, v82, v63
	;;#ASMEND
	;;#ASMSTART
	v_dot2_f32_f16 v63, v79, v83, v63
	;;#ASMEND
	s_waitcnt lgkmcnt(3)
	;;#ASMSTART
	v_dot2_f32_f16 v64, v76, v84, v64
	;;#ASMEND
	;;#ASMSTART
	v_dot2_f32_f16 v64, v77, v85, v64
	;;#ASMEND
	;;#ASMSTART
	v_dot2_f32_f16 v64, v78, v86, v64
	;;#ASMEND
	;;#ASMSTART
	v_dot2_f32_f16 v64, v79, v87, v64
	;;#ASMEND
	;; [unrolled: 13-line block ×5, first 2 shown]
	;;#ASMSTART
	v_dot2_f32_f16 v68, v96, v84, v68
	;;#ASMEND
	;;#ASMSTART
	v_dot2_f32_f16 v68, v97, v85, v68
	;;#ASMEND
	;; [unrolled: 3-line block ×12, first 2 shown]
	s_barrier
	buffer_gl0_inv
	s_clause 0x1
	global_load_b128 v[76:79], v[24:25], off offset:128
	global_load_b128 v[80:83], v[22:23], off offset:128
	s_waitcnt vmcnt(1)
	ds_store_b128 v35, v[76:79]
	s_waitcnt vmcnt(0)
	ds_store_b128 v36, v[80:83]
	s_waitcnt lgkmcnt(0)
	s_barrier
	buffer_gl0_inv
	ds_load_b128 v[76:79], v37 offset:12288
	ds_load_b128 v[80:83], v38 offset:128
	;; [unrolled: 1-line block ×6, first 2 shown]
	s_waitcnt lgkmcnt(4)
	;;#ASMSTART
	v_dot2_f32_f16 v63, v76, v80, v63
	;;#ASMEND
	;;#ASMSTART
	v_dot2_f32_f16 v63, v77, v81, v63
	;;#ASMEND
	;;#ASMSTART
	v_dot2_f32_f16 v63, v78, v82, v63
	;;#ASMEND
	;;#ASMSTART
	v_dot2_f32_f16 v63, v79, v83, v63
	;;#ASMEND
	s_waitcnt lgkmcnt(3)
	;;#ASMSTART
	v_dot2_f32_f16 v64, v76, v84, v64
	;;#ASMEND
	;;#ASMSTART
	v_dot2_f32_f16 v64, v77, v85, v64
	;;#ASMEND
	;;#ASMSTART
	v_dot2_f32_f16 v64, v78, v86, v64
	;;#ASMEND
	;;#ASMSTART
	v_dot2_f32_f16 v64, v79, v87, v64
	;;#ASMEND
	;; [unrolled: 13-line block ×5, first 2 shown]
	;;#ASMSTART
	v_dot2_f32_f16 v68, v96, v84, v68
	;;#ASMEND
	;;#ASMSTART
	v_dot2_f32_f16 v68, v97, v85, v68
	;;#ASMEND
	;; [unrolled: 3-line block ×12, first 2 shown]
	ds_load_b128 v[76:79], v37 offset:12304
	ds_load_b128 v[80:83], v38 offset:144
	;; [unrolled: 1-line block ×6, first 2 shown]
	s_waitcnt lgkmcnt(4)
	;;#ASMSTART
	v_dot2_f32_f16 v63, v76, v80, v63
	;;#ASMEND
	;;#ASMSTART
	v_dot2_f32_f16 v63, v77, v81, v63
	;;#ASMEND
	;;#ASMSTART
	v_dot2_f32_f16 v63, v78, v82, v63
	;;#ASMEND
	;;#ASMSTART
	v_dot2_f32_f16 v63, v79, v83, v63
	;;#ASMEND
	s_waitcnt lgkmcnt(3)
	;;#ASMSTART
	v_dot2_f32_f16 v64, v76, v84, v64
	;;#ASMEND
	;;#ASMSTART
	v_dot2_f32_f16 v64, v77, v85, v64
	;;#ASMEND
	;;#ASMSTART
	v_dot2_f32_f16 v64, v78, v86, v64
	;;#ASMEND
	;;#ASMSTART
	v_dot2_f32_f16 v64, v79, v87, v64
	;;#ASMEND
	;; [unrolled: 13-line block ×5, first 2 shown]
	;;#ASMSTART
	v_dot2_f32_f16 v68, v96, v84, v68
	;;#ASMEND
	;;#ASMSTART
	v_dot2_f32_f16 v68, v97, v85, v68
	;;#ASMEND
	;; [unrolled: 3-line block ×12, first 2 shown]
	ds_load_b128 v[76:79], v37 offset:12320
	ds_load_b128 v[80:83], v38 offset:160
	;; [unrolled: 1-line block ×6, first 2 shown]
	s_waitcnt lgkmcnt(4)
	;;#ASMSTART
	v_dot2_f32_f16 v63, v76, v80, v63
	;;#ASMEND
	;;#ASMSTART
	v_dot2_f32_f16 v63, v77, v81, v63
	;;#ASMEND
	;;#ASMSTART
	v_dot2_f32_f16 v63, v78, v82, v63
	;;#ASMEND
	;;#ASMSTART
	v_dot2_f32_f16 v63, v79, v83, v63
	;;#ASMEND
	s_waitcnt lgkmcnt(3)
	;;#ASMSTART
	v_dot2_f32_f16 v64, v76, v84, v64
	;;#ASMEND
	;;#ASMSTART
	v_dot2_f32_f16 v64, v77, v85, v64
	;;#ASMEND
	;;#ASMSTART
	v_dot2_f32_f16 v64, v78, v86, v64
	;;#ASMEND
	;;#ASMSTART
	v_dot2_f32_f16 v64, v79, v87, v64
	;;#ASMEND
	s_waitcnt lgkmcnt(2)
	;;#ASMSTART
	v_dot2_f32_f16 v65, v76, v88, v65
	;;#ASMEND
	;;#ASMSTART
	v_dot2_f32_f16 v65, v77, v89, v65
	;;#ASMEND
	;;#ASMSTART
	v_dot2_f32_f16 v65, v78, v90, v65
	;;#ASMEND
	;;#ASMSTART
	v_dot2_f32_f16 v65, v79, v91, v65
	;;#ASMEND
	s_waitcnt lgkmcnt(1)
	;;#ASMSTART
	v_dot2_f32_f16 v66, v76, v92, v66
	;;#ASMEND
	;;#ASMSTART
	v_dot2_f32_f16 v66, v77, v93, v66
	;;#ASMEND
	;;#ASMSTART
	v_dot2_f32_f16 v66, v78, v94, v66
	;;#ASMEND
	;;#ASMSTART
	v_dot2_f32_f16 v66, v79, v95, v66
	;;#ASMEND
	s_waitcnt lgkmcnt(0)
	;;#ASMSTART
	v_dot2_f32_f16 v67, v96, v80, v67
	;;#ASMEND
	;;#ASMSTART
	v_dot2_f32_f16 v67, v97, v81, v67
	;;#ASMEND
	;;#ASMSTART
	v_dot2_f32_f16 v67, v98, v82, v67
	;;#ASMEND
	;;#ASMSTART
	v_dot2_f32_f16 v67, v99, v83, v67
	;;#ASMEND
	;;#ASMSTART
	v_dot2_f32_f16 v68, v96, v84, v68
	;;#ASMEND
	;;#ASMSTART
	v_dot2_f32_f16 v68, v97, v85, v68
	;;#ASMEND
	;; [unrolled: 3-line block ×12, first 2 shown]
	ds_load_b128 v[76:79], v37 offset:12336
	ds_load_b128 v[80:83], v38 offset:176
	ds_load_b128 v[84:87], v38 offset:560
	ds_load_b128 v[88:91], v38 offset:944
	ds_load_b128 v[92:95], v38 offset:1328
	ds_load_b128 v[96:99], v37 offset:16944
	s_waitcnt lgkmcnt(4)
	;;#ASMSTART
	v_dot2_f32_f16 v63, v76, v80, v63
	;;#ASMEND
	;;#ASMSTART
	v_dot2_f32_f16 v63, v77, v81, v63
	;;#ASMEND
	;;#ASMSTART
	v_dot2_f32_f16 v63, v78, v82, v63
	;;#ASMEND
	;;#ASMSTART
	v_dot2_f32_f16 v63, v79, v83, v63
	;;#ASMEND
	s_waitcnt lgkmcnt(3)
	;;#ASMSTART
	v_dot2_f32_f16 v64, v76, v84, v64
	;;#ASMEND
	;;#ASMSTART
	v_dot2_f32_f16 v64, v77, v85, v64
	;;#ASMEND
	;;#ASMSTART
	v_dot2_f32_f16 v64, v78, v86, v64
	;;#ASMEND
	;;#ASMSTART
	v_dot2_f32_f16 v64, v79, v87, v64
	;;#ASMEND
	;; [unrolled: 13-line block ×5, first 2 shown]
	;;#ASMSTART
	v_dot2_f32_f16 v68, v96, v84, v68
	;;#ASMEND
	;;#ASMSTART
	v_dot2_f32_f16 v68, v97, v85, v68
	;;#ASMEND
	;; [unrolled: 3-line block ×12, first 2 shown]
	ds_load_b128 v[76:79], v37 offset:12352
	ds_load_b128 v[80:83], v38 offset:192
	;; [unrolled: 1-line block ×6, first 2 shown]
	s_waitcnt lgkmcnt(4)
	;;#ASMSTART
	v_dot2_f32_f16 v63, v76, v80, v63
	;;#ASMEND
	;;#ASMSTART
	v_dot2_f32_f16 v63, v77, v81, v63
	;;#ASMEND
	;;#ASMSTART
	v_dot2_f32_f16 v63, v78, v82, v63
	;;#ASMEND
	;;#ASMSTART
	v_dot2_f32_f16 v63, v79, v83, v63
	;;#ASMEND
	s_waitcnt lgkmcnt(3)
	;;#ASMSTART
	v_dot2_f32_f16 v64, v76, v84, v64
	;;#ASMEND
	;;#ASMSTART
	v_dot2_f32_f16 v64, v77, v85, v64
	;;#ASMEND
	;;#ASMSTART
	v_dot2_f32_f16 v64, v78, v86, v64
	;;#ASMEND
	;;#ASMSTART
	v_dot2_f32_f16 v64, v79, v87, v64
	;;#ASMEND
	;; [unrolled: 13-line block ×5, first 2 shown]
	;;#ASMSTART
	v_dot2_f32_f16 v68, v96, v84, v68
	;;#ASMEND
	;;#ASMSTART
	v_dot2_f32_f16 v68, v97, v85, v68
	;;#ASMEND
	;; [unrolled: 3-line block ×12, first 2 shown]
	ds_load_b128 v[76:79], v37 offset:12368
	ds_load_b128 v[80:83], v38 offset:208
	;; [unrolled: 1-line block ×6, first 2 shown]
	s_waitcnt lgkmcnt(4)
	;;#ASMSTART
	v_dot2_f32_f16 v63, v76, v80, v63
	;;#ASMEND
	;;#ASMSTART
	v_dot2_f32_f16 v63, v77, v81, v63
	;;#ASMEND
	;;#ASMSTART
	v_dot2_f32_f16 v63, v78, v82, v63
	;;#ASMEND
	;;#ASMSTART
	v_dot2_f32_f16 v63, v79, v83, v63
	;;#ASMEND
	s_waitcnt lgkmcnt(3)
	;;#ASMSTART
	v_dot2_f32_f16 v64, v76, v84, v64
	;;#ASMEND
	;;#ASMSTART
	v_dot2_f32_f16 v64, v77, v85, v64
	;;#ASMEND
	;;#ASMSTART
	v_dot2_f32_f16 v64, v78, v86, v64
	;;#ASMEND
	;;#ASMSTART
	v_dot2_f32_f16 v64, v79, v87, v64
	;;#ASMEND
	;; [unrolled: 13-line block ×5, first 2 shown]
	;;#ASMSTART
	v_dot2_f32_f16 v68, v96, v84, v68
	;;#ASMEND
	;;#ASMSTART
	v_dot2_f32_f16 v68, v97, v85, v68
	;;#ASMEND
	;; [unrolled: 3-line block ×12, first 2 shown]
	ds_load_b128 v[76:79], v37 offset:12384
	ds_load_b128 v[80:83], v38 offset:224
	ds_load_b128 v[84:87], v38 offset:608
	ds_load_b128 v[88:91], v38 offset:992
	ds_load_b128 v[92:95], v38 offset:1376
	ds_load_b128 v[96:99], v37 offset:16992
	s_waitcnt lgkmcnt(4)
	;;#ASMSTART
	v_dot2_f32_f16 v63, v76, v80, v63
	;;#ASMEND
	;;#ASMSTART
	v_dot2_f32_f16 v63, v77, v81, v63
	;;#ASMEND
	;;#ASMSTART
	v_dot2_f32_f16 v63, v78, v82, v63
	;;#ASMEND
	;;#ASMSTART
	v_dot2_f32_f16 v63, v79, v83, v63
	;;#ASMEND
	s_waitcnt lgkmcnt(3)
	;;#ASMSTART
	v_dot2_f32_f16 v64, v76, v84, v64
	;;#ASMEND
	;;#ASMSTART
	v_dot2_f32_f16 v64, v77, v85, v64
	;;#ASMEND
	;;#ASMSTART
	v_dot2_f32_f16 v64, v78, v86, v64
	;;#ASMEND
	;;#ASMSTART
	v_dot2_f32_f16 v64, v79, v87, v64
	;;#ASMEND
	;; [unrolled: 13-line block ×5, first 2 shown]
	;;#ASMSTART
	v_dot2_f32_f16 v68, v96, v84, v68
	;;#ASMEND
	;;#ASMSTART
	v_dot2_f32_f16 v68, v97, v85, v68
	;;#ASMEND
	;; [unrolled: 3-line block ×12, first 2 shown]
	ds_load_b128 v[76:79], v37 offset:12400
	ds_load_b128 v[80:83], v38 offset:240
	;; [unrolled: 1-line block ×6, first 2 shown]
	s_waitcnt lgkmcnt(4)
	;;#ASMSTART
	v_dot2_f32_f16 v63, v76, v80, v63
	;;#ASMEND
	;;#ASMSTART
	v_dot2_f32_f16 v63, v77, v81, v63
	;;#ASMEND
	;;#ASMSTART
	v_dot2_f32_f16 v63, v78, v82, v63
	;;#ASMEND
	;;#ASMSTART
	v_dot2_f32_f16 v63, v79, v83, v63
	;;#ASMEND
	s_waitcnt lgkmcnt(3)
	;;#ASMSTART
	v_dot2_f32_f16 v64, v76, v84, v64
	;;#ASMEND
	;;#ASMSTART
	v_dot2_f32_f16 v64, v77, v85, v64
	;;#ASMEND
	;;#ASMSTART
	v_dot2_f32_f16 v64, v78, v86, v64
	;;#ASMEND
	;;#ASMSTART
	v_dot2_f32_f16 v64, v79, v87, v64
	;;#ASMEND
	;; [unrolled: 13-line block ×5, first 2 shown]
	;;#ASMSTART
	v_dot2_f32_f16 v68, v96, v84, v68
	;;#ASMEND
	;;#ASMSTART
	v_dot2_f32_f16 v68, v97, v85, v68
	;;#ASMEND
	;; [unrolled: 3-line block ×12, first 2 shown]
	s_barrier
	buffer_gl0_inv
	s_clause 0x1
	global_load_b128 v[76:79], v[24:25], off offset:256
	global_load_b128 v[22:25], v[22:23], off offset:256
	s_waitcnt vmcnt(1)
	ds_store_b128 v35, v[76:79]
	s_waitcnt vmcnt(0)
	ds_store_b128 v36, v[22:25]
	s_waitcnt lgkmcnt(0)
	s_barrier
	buffer_gl0_inv
	ds_load_b128 v[22:25], v37 offset:12288
	ds_load_b128 v[76:79], v38 offset:256
	;; [unrolled: 1-line block ×6, first 2 shown]
	s_waitcnt lgkmcnt(4)
	;;#ASMSTART
	v_dot2_f32_f16 v63, v22, v76, v63
	;;#ASMEND
	;;#ASMSTART
	v_dot2_f32_f16 v63, v23, v77, v63
	;;#ASMEND
	;;#ASMSTART
	v_dot2_f32_f16 v63, v24, v78, v63
	;;#ASMEND
	;;#ASMSTART
	v_dot2_f32_f16 v63, v25, v79, v63
	;;#ASMEND
	s_waitcnt lgkmcnt(3)
	;;#ASMSTART
	v_dot2_f32_f16 v64, v22, v80, v64
	;;#ASMEND
	;;#ASMSTART
	v_dot2_f32_f16 v64, v23, v81, v64
	;;#ASMEND
	;;#ASMSTART
	v_dot2_f32_f16 v64, v24, v82, v64
	;;#ASMEND
	;;#ASMSTART
	v_dot2_f32_f16 v64, v25, v83, v64
	;;#ASMEND
	;; [unrolled: 13-line block ×5, first 2 shown]
	;;#ASMSTART
	v_dot2_f32_f16 v68, v92, v80, v68
	;;#ASMEND
	;;#ASMSTART
	v_dot2_f32_f16 v68, v93, v81, v68
	;;#ASMEND
	;; [unrolled: 3-line block ×12, first 2 shown]
	ds_load_b128 v[22:25], v37 offset:12304
	ds_load_b128 v[76:79], v38 offset:272
	;; [unrolled: 1-line block ×6, first 2 shown]
	s_waitcnt lgkmcnt(4)
	;;#ASMSTART
	v_dot2_f32_f16 v63, v22, v76, v63
	;;#ASMEND
	;;#ASMSTART
	v_dot2_f32_f16 v63, v23, v77, v63
	;;#ASMEND
	;;#ASMSTART
	v_dot2_f32_f16 v63, v24, v78, v63
	;;#ASMEND
	;;#ASMSTART
	v_dot2_f32_f16 v63, v25, v79, v63
	;;#ASMEND
	s_waitcnt lgkmcnt(3)
	;;#ASMSTART
	v_dot2_f32_f16 v64, v22, v80, v64
	;;#ASMEND
	;;#ASMSTART
	v_dot2_f32_f16 v64, v23, v81, v64
	;;#ASMEND
	;;#ASMSTART
	v_dot2_f32_f16 v64, v24, v82, v64
	;;#ASMEND
	;;#ASMSTART
	v_dot2_f32_f16 v64, v25, v83, v64
	;;#ASMEND
	;; [unrolled: 13-line block ×5, first 2 shown]
	;;#ASMSTART
	v_dot2_f32_f16 v68, v92, v80, v68
	;;#ASMEND
	;;#ASMSTART
	v_dot2_f32_f16 v68, v93, v81, v68
	;;#ASMEND
	;; [unrolled: 3-line block ×12, first 2 shown]
	ds_load_b128 v[22:25], v37 offset:12320
	ds_load_b128 v[76:79], v38 offset:288
	;; [unrolled: 1-line block ×6, first 2 shown]
	s_waitcnt lgkmcnt(4)
	;;#ASMSTART
	v_dot2_f32_f16 v63, v22, v76, v63
	;;#ASMEND
	;;#ASMSTART
	v_dot2_f32_f16 v63, v23, v77, v63
	;;#ASMEND
	;;#ASMSTART
	v_dot2_f32_f16 v63, v24, v78, v63
	;;#ASMEND
	;;#ASMSTART
	v_dot2_f32_f16 v63, v25, v79, v63
	;;#ASMEND
	s_waitcnt lgkmcnt(3)
	;;#ASMSTART
	v_dot2_f32_f16 v64, v22, v80, v64
	;;#ASMEND
	;;#ASMSTART
	v_dot2_f32_f16 v64, v23, v81, v64
	;;#ASMEND
	;;#ASMSTART
	v_dot2_f32_f16 v64, v24, v82, v64
	;;#ASMEND
	;;#ASMSTART
	v_dot2_f32_f16 v64, v25, v83, v64
	;;#ASMEND
	;; [unrolled: 13-line block ×5, first 2 shown]
	;;#ASMSTART
	v_dot2_f32_f16 v68, v92, v80, v68
	;;#ASMEND
	;;#ASMSTART
	v_dot2_f32_f16 v68, v93, v81, v68
	;;#ASMEND
	;; [unrolled: 3-line block ×12, first 2 shown]
	ds_load_b128 v[22:25], v37 offset:12336
	ds_load_b128 v[76:79], v38 offset:304
	;; [unrolled: 1-line block ×6, first 2 shown]
	s_waitcnt lgkmcnt(4)
	;;#ASMSTART
	v_dot2_f32_f16 v63, v22, v76, v63
	;;#ASMEND
	;;#ASMSTART
	v_dot2_f32_f16 v63, v23, v77, v63
	;;#ASMEND
	;;#ASMSTART
	v_dot2_f32_f16 v63, v24, v78, v63
	;;#ASMEND
	;;#ASMSTART
	v_dot2_f32_f16 v63, v25, v79, v63
	;;#ASMEND
	s_waitcnt lgkmcnt(3)
	;;#ASMSTART
	v_dot2_f32_f16 v64, v22, v80, v64
	;;#ASMEND
	;;#ASMSTART
	v_dot2_f32_f16 v64, v23, v81, v64
	;;#ASMEND
	;;#ASMSTART
	v_dot2_f32_f16 v64, v24, v82, v64
	;;#ASMEND
	;;#ASMSTART
	v_dot2_f32_f16 v64, v25, v83, v64
	;;#ASMEND
	;; [unrolled: 13-line block ×5, first 2 shown]
	;;#ASMSTART
	v_dot2_f32_f16 v68, v92, v80, v68
	;;#ASMEND
	;;#ASMSTART
	v_dot2_f32_f16 v68, v93, v81, v68
	;;#ASMEND
	;; [unrolled: 3-line block ×12, first 2 shown]
	ds_load_b128 v[22:25], v37 offset:12352
	ds_load_b128 v[76:79], v38 offset:320
	;; [unrolled: 1-line block ×6, first 2 shown]
	s_waitcnt lgkmcnt(4)
	;;#ASMSTART
	v_dot2_f32_f16 v63, v22, v76, v63
	;;#ASMEND
	;;#ASMSTART
	v_dot2_f32_f16 v63, v23, v77, v63
	;;#ASMEND
	;;#ASMSTART
	v_dot2_f32_f16 v63, v24, v78, v63
	;;#ASMEND
	;;#ASMSTART
	v_dot2_f32_f16 v63, v25, v79, v63
	;;#ASMEND
	s_waitcnt lgkmcnt(3)
	;;#ASMSTART
	v_dot2_f32_f16 v64, v22, v80, v64
	;;#ASMEND
	;;#ASMSTART
	v_dot2_f32_f16 v64, v23, v81, v64
	;;#ASMEND
	;;#ASMSTART
	v_dot2_f32_f16 v64, v24, v82, v64
	;;#ASMEND
	;;#ASMSTART
	v_dot2_f32_f16 v64, v25, v83, v64
	;;#ASMEND
	;; [unrolled: 13-line block ×5, first 2 shown]
	;;#ASMSTART
	v_dot2_f32_f16 v68, v92, v80, v68
	;;#ASMEND
	;;#ASMSTART
	v_dot2_f32_f16 v68, v93, v81, v68
	;;#ASMEND
	;; [unrolled: 3-line block ×12, first 2 shown]
	ds_load_b128 v[22:25], v37 offset:12368
	ds_load_b128 v[76:79], v38 offset:336
	ds_load_b128 v[80:83], v38 offset:720
	ds_load_b128 v[84:87], v38 offset:1104
	ds_load_b128 v[88:91], v38 offset:1488
	ds_load_b128 v[92:95], v37 offset:16976
	s_waitcnt lgkmcnt(4)
	;;#ASMSTART
	v_dot2_f32_f16 v63, v22, v76, v63
	;;#ASMEND
	;;#ASMSTART
	v_dot2_f32_f16 v63, v23, v77, v63
	;;#ASMEND
	;;#ASMSTART
	v_dot2_f32_f16 v63, v24, v78, v63
	;;#ASMEND
	;;#ASMSTART
	v_dot2_f32_f16 v63, v25, v79, v63
	;;#ASMEND
	s_waitcnt lgkmcnt(3)
	;;#ASMSTART
	v_dot2_f32_f16 v64, v22, v80, v64
	;;#ASMEND
	;;#ASMSTART
	v_dot2_f32_f16 v64, v23, v81, v64
	;;#ASMEND
	;;#ASMSTART
	v_dot2_f32_f16 v64, v24, v82, v64
	;;#ASMEND
	;;#ASMSTART
	v_dot2_f32_f16 v64, v25, v83, v64
	;;#ASMEND
	;; [unrolled: 13-line block ×5, first 2 shown]
	;;#ASMSTART
	v_dot2_f32_f16 v68, v92, v80, v68
	;;#ASMEND
	;;#ASMSTART
	v_dot2_f32_f16 v68, v93, v81, v68
	;;#ASMEND
	;; [unrolled: 3-line block ×12, first 2 shown]
	ds_load_b128 v[22:25], v37 offset:12384
	ds_load_b128 v[76:79], v38 offset:352
	;; [unrolled: 1-line block ×6, first 2 shown]
	s_waitcnt lgkmcnt(4)
	;;#ASMSTART
	v_dot2_f32_f16 v63, v22, v76, v63
	;;#ASMEND
	;;#ASMSTART
	v_dot2_f32_f16 v63, v23, v77, v63
	;;#ASMEND
	;;#ASMSTART
	v_dot2_f32_f16 v63, v24, v78, v63
	;;#ASMEND
	;;#ASMSTART
	v_dot2_f32_f16 v63, v25, v79, v63
	;;#ASMEND
	s_waitcnt lgkmcnt(3)
	;;#ASMSTART
	v_dot2_f32_f16 v64, v22, v80, v64
	;;#ASMEND
	;;#ASMSTART
	v_dot2_f32_f16 v64, v23, v81, v64
	;;#ASMEND
	;;#ASMSTART
	v_dot2_f32_f16 v64, v24, v82, v64
	;;#ASMEND
	;;#ASMSTART
	v_dot2_f32_f16 v64, v25, v83, v64
	;;#ASMEND
	;; [unrolled: 13-line block ×5, first 2 shown]
	;;#ASMSTART
	v_dot2_f32_f16 v68, v92, v80, v68
	;;#ASMEND
	;;#ASMSTART
	v_dot2_f32_f16 v68, v93, v81, v68
	;;#ASMEND
	;; [unrolled: 3-line block ×12, first 2 shown]
	ds_load_b128 v[22:25], v37 offset:12400
	ds_load_b128 v[76:79], v38 offset:368
	;; [unrolled: 1-line block ×6, first 2 shown]
	s_waitcnt lgkmcnt(4)
	;;#ASMSTART
	v_dot2_f32_f16 v63, v22, v76, v63
	;;#ASMEND
	;;#ASMSTART
	v_dot2_f32_f16 v63, v23, v77, v63
	;;#ASMEND
	;;#ASMSTART
	v_dot2_f32_f16 v63, v24, v78, v63
	;;#ASMEND
	;;#ASMSTART
	v_dot2_f32_f16 v63, v25, v79, v63
	;;#ASMEND
	s_waitcnt lgkmcnt(3)
	;;#ASMSTART
	v_dot2_f32_f16 v64, v22, v80, v64
	;;#ASMEND
	;;#ASMSTART
	v_dot2_f32_f16 v64, v23, v81, v64
	;;#ASMEND
	;;#ASMSTART
	v_dot2_f32_f16 v64, v24, v82, v64
	;;#ASMEND
	;;#ASMSTART
	v_dot2_f32_f16 v64, v25, v83, v64
	;;#ASMEND
	;; [unrolled: 13-line block ×5, first 2 shown]
	;;#ASMSTART
	v_dot2_f32_f16 v68, v92, v80, v68
	;;#ASMEND
	;;#ASMSTART
	v_dot2_f32_f16 v68, v93, v81, v68
	;;#ASMEND
	;; [unrolled: 3-line block ×12, first 2 shown]
	s_clause 0x1
	flat_load_u16 v80, v[20:21]
	flat_load_u16 v20, v[20:21] offset:64
	s_waitcnt vmcnt(0) lgkmcnt(0)
	s_barrier
	buffer_gl0_inv
	s_clause 0x1
	global_load_b128 v[22:25], v[2:3], off
	global_load_b128 v[76:79], v[0:1], off
	v_cvt_f32_f16_e32 v0, v80
	v_cvt_f32_f16_e32 v1, v20
	s_delay_alu instid0(VALU_DEP_2) | instskip(SKIP_1) | instid1(VALU_DEP_3)
	v_add_f32_e32 v20, v64, v0
	v_add_f32_e32 v21, v63, v0
	;; [unrolled: 1-line block ×3, first 2 shown]
	v_dual_add_f32 v63, v68, v1 :: v_dual_add_f32 v66, v66, v0
	v_add_f32_e32 v65, v65, v0
	s_delay_alu instid0(VALU_DEP_3) | instskip(SKIP_1) | instid1(VALU_DEP_4)
	v_dual_add_f32 v67, v70, v1 :: v_dual_add_f32 v2, 0x40051340, v64
	v_dual_add_f32 v68, v69, v1 :: v_dual_add_f32 v1, 0x40051340, v20
	;; [unrolled: 1-line block ×3, first 2 shown]
	s_delay_alu instid0(VALU_DEP_4) | instskip(NEXT) | instid1(VALU_DEP_3)
	v_dual_add_f32 v69, 0x40051340, v65 :: v_dual_add_f32 v70, 0x40051340, v66
	v_add_f32_e32 v81, 0x40051340, v68
	s_delay_alu instid0(VALU_DEP_3) | instskip(NEXT) | instid1(VALU_DEP_4)
	v_max3_f32 v0, v62, v0, v2
	v_max3_f32 v1, v61, v1, v3
	s_delay_alu instid0(VALU_DEP_3) | instskip(SKIP_3) | instid1(VALU_DEP_1)
	v_max3_f32 v3, v60, v69, v81
	ds_bpermute_b32 v69, v75, v0
	s_waitcnt lgkmcnt(0)
	v_dual_add_f32 v80, 0x40051340, v67 :: v_dual_max_f32 v69, v69, v69
	v_max3_f32 v2, v59, v70, v80
	ds_bpermute_b32 v70, v75, v1
	ds_bpermute_b32 v80, v75, v2
	;; [unrolled: 1-line block ×3, first 2 shown]
	s_waitcnt lgkmcnt(0)
	v_dual_max_f32 v70, v70, v70 :: v_dual_max_f32 v75, v75, v75
	v_max_f32_e32 v0, v0, v69
	s_delay_alu instid0(VALU_DEP_2) | instskip(NEXT) | instid1(VALU_DEP_3)
	v_dual_max_f32 v80, v80, v80 :: v_dual_max_f32 v1, v1, v70
	v_max_f32_e32 v3, v3, v75
	ds_bpermute_b32 v69, v74, v0
	v_max_f32_e32 v2, v2, v80
	ds_bpermute_b32 v70, v74, v1
	s_waitcnt lgkmcnt(1)
	v_max_f32_e32 v69, v69, v69
	ds_bpermute_b32 v75, v74, v2
	ds_bpermute_b32 v74, v74, v3
	s_waitcnt lgkmcnt(1)
	v_dual_max_f32 v70, v70, v70 :: v_dual_max_f32 v75, v75, v75
	s_delay_alu instid0(VALU_DEP_1)
	v_dual_max_f32 v0, v0, v69 :: v_dual_max_f32 v1, v1, v70
	ds_bpermute_b32 v69, v73, v0
	s_waitcnt lgkmcnt(1)
	v_max_f32_e32 v74, v74, v74
	ds_bpermute_b32 v70, v73, v1
	s_waitcnt lgkmcnt(1)
	v_dual_max_f32 v69, v69, v69 :: v_dual_max_f32 v2, v2, v75
	v_max_f32_e32 v3, v3, v74
	ds_bpermute_b32 v74, v73, v2
	ds_bpermute_b32 v73, v73, v3
	s_waitcnt lgkmcnt(0)
	v_dual_max_f32 v70, v70, v70 :: v_dual_max_f32 v73, v73, v73
	s_delay_alu instid0(VALU_DEP_1) | instskip(NEXT) | instid1(VALU_DEP_2)
	v_dual_max_f32 v0, v0, v69 :: v_dual_max_f32 v1, v1, v70
	v_dual_max_f32 v74, v74, v74 :: v_dual_max_f32 v3, v3, v73
	ds_bpermute_b32 v69, v72, v0
	ds_bpermute_b32 v70, v72, v1
	s_waitcnt lgkmcnt(1)
	v_dual_max_f32 v2, v2, v74 :: v_dual_max_f32 v69, v69, v69
	ds_bpermute_b32 v73, v72, v2
	ds_bpermute_b32 v72, v72, v3
	s_waitcnt lgkmcnt(1)
	v_dual_max_f32 v70, v70, v70 :: v_dual_max_f32 v73, v73, v73
	s_waitcnt lgkmcnt(0)
	s_delay_alu instid0(VALU_DEP_1) | instskip(NEXT) | instid1(VALU_DEP_1)
	v_dual_max_f32 v72, v72, v72 :: v_dual_max_f32 v1, v1, v70
	v_dual_max_f32 v0, v0, v69 :: v_dual_max_f32 v69, v3, v72
	ds_bpermute_b32 v70, v71, v1
	ds_bpermute_b32 v3, v71, v0
	s_waitcnt lgkmcnt(0)
	v_dual_max_f32 v2, v2, v73 :: v_dual_max_f32 v3, v3, v3
	ds_bpermute_b32 v72, v71, v2
	ds_bpermute_b32 v71, v71, v69
	s_waitcnt lgkmcnt(0)
	v_dual_max_f32 v70, v70, v70 :: v_dual_max_f32 v71, v71, v71
	s_delay_alu instid0(VALU_DEP_1) | instskip(NEXT) | instid1(VALU_DEP_1)
	v_dual_max_f32 v72, v72, v72 :: v_dual_max_f32 v1, v1, v70
	v_dual_max_f32 v0, v0, v3 :: v_dual_max_f32 v3, v2, v72
	s_delay_alu instid0(VALU_DEP_2) | instskip(NEXT) | instid1(VALU_DEP_2)
	v_dual_max_f32 v2, v69, v71 :: v_dual_sub_f32 v63, v63, v1
	v_dual_sub_f32 v62, v62, v0 :: v_dual_sub_f32 v61, v61, v1
	v_dual_sub_f32 v21, v21, v0 :: v_dual_sub_f32 v20, v20, v1
	s_delay_alu instid0(VALU_DEP_3) | instskip(SKIP_2) | instid1(VALU_DEP_4)
	v_dual_sub_f32 v68, v68, v2 :: v_dual_sub_f32 v67, v67, v3
	v_dual_sub_f32 v64, v64, v0 :: v_dual_sub_f32 v65, v65, v2
	v_sub_f32_e32 v66, v66, v3
	v_dual_mul_f32 v70, 0x3fb8aa3b, v20 :: v_dual_mul_f32 v71, 0x3fb8aa3b, v21
	v_dual_mul_f32 v72, 0x3fb8aa3b, v62 :: v_dual_mul_f32 v73, 0x3fb8aa3b, v63
	;; [unrolled: 1-line block ×3, first 2 shown]
	s_delay_alu instid0(VALU_DEP_4)
	v_dual_mul_f32 v69, 0x3fb8aa3b, v64 :: v_dual_mul_f32 v80, 0x3fb8aa3b, v66
	v_mul_f32_e32 v81, 0x3fb8aa3b, v65
	v_fma_f32 v87, 0x3fb8aa3b, v20, -v70
	v_fma_f32 v91, 0x3fb8aa3b, v62, -v72
	v_rndne_f32_e32 v92, v72
	v_fma_f32 v97, 0x3fb8aa3b, v68, -v75
	v_rndne_f32_e32 v98, v75
	v_cmp_ngt_f32_e64 s3, 0xc2ce8ed0, v62
	v_cmp_ngt_f32_e64 s6, 0xc2ce8ed0, v68
	v_cmp_nlt_f32_e64 s16, 0x42b17218, v62
	v_cmp_nlt_f32_e64 s19, 0x42b17218, v68
	v_fma_f32 v99, 0x3fb8aa3b, v66, -v80
	v_fmac_f32_e32 v87, 0x32a5705f, v20
	v_dual_fmac_f32 v91, 0x32a5705f, v62 :: v_dual_sub_f32 v62, v72, v92
	v_dual_fmac_f32 v97, 0x32a5705f, v68 :: v_dual_sub_f32 v68, v75, v98
	v_cvt_i32_f32_e32 v75, v98
	v_dual_sub_f32 v60, v60, v2 :: v_dual_sub_f32 v59, v59, v3
	s_delay_alu instid0(VALU_DEP_4) | instskip(NEXT) | instid1(VALU_DEP_4)
	v_dual_add_f32 v62, v62, v91 :: v_dual_fmac_f32 v99, 0x32a5705f, v66
	v_add_f32_e32 v68, v68, v97
	v_fma_f32 v85, 0x3fb8aa3b, v64, -v69
	v_rndne_f32_e32 v86, v69
	v_rndne_f32_e32 v88, v70
	v_fma_f32 v89, 0x3fb8aa3b, v21, -v71
	v_exp_f32_e32 v68, v68
	v_rndne_f32_e32 v90, v71
	v_mul_f32_e32 v84, 0x3fb8aa3b, v59
	v_cmp_ngt_f32_e32 vcc_lo, 0xc2ce8ed0, v20
	v_cmp_ngt_f32_e64 s2, 0xc2ce8ed0, v21
	v_cmp_ngt_f32_e64 s12, 0xc2ce8ed0, v64
	v_cmp_nlt_f32_e64 s13, 0x42b17218, v20
	v_cmp_nlt_f32_e64 s15, 0x42b17218, v21
	v_cmp_nlt_f32_e64 s25, 0x42b17218, v64
	v_fma_f32 v95, 0x3fb8aa3b, v61, -v74
	v_ldexp_f32 v68, v68, v75
	v_rndne_f32_e32 v96, v74
	v_dual_fmac_f32 v85, 0x32a5705f, v64 :: v_dual_sub_f32 v64, v69, v86
	v_dual_sub_f32 v20, v70, v88 :: v_dual_fmac_f32 v89, 0x32a5705f, v21
	v_sub_f32_e32 v21, v71, v90
	v_cndmask_b32_e64 v68, 0, v68, s6
	v_cmp_ngt_f32_e64 s5, 0xc2ce8ed0, v61
	v_cmp_nlt_f32_e64 s18, 0x42b17218, v61
	v_dual_fmac_f32 v95, 0x32a5705f, v61 :: v_dual_add_f32 v20, v20, v87
	v_dual_sub_f32 v61, v74, v96 :: v_dual_add_f32 v64, v64, v85
	v_cndmask_b32_e64 v127, 0x7f800000, v68, s19
	v_add_f32_e32 v21, v21, v89
	v_cvt_i32_f32_e32 v69, v86
	v_cvt_i32_f32_e32 v71, v90
	v_exp_f32_e32 v64, v64
	v_exp_f32_e32 v20, v20
	;; [unrolled: 1-line block ×4, first 2 shown]
	v_dual_mul_f32 v82, 0x3fb8aa3b, v60 :: v_dual_mul_f32 v83, 0x3fb8aa3b, v67
	v_cvt_i32_f32_e32 v70, v88
	v_cvt_i32_f32_e32 v72, v92
	v_fma_f32 v93, 0x3fb8aa3b, v63, -v73
	v_rndne_f32_e32 v94, v73
	v_ldexp_f32 v64, v64, v69
	v_fma_f32 v105, 0x3fb8aa3b, v67, -v83
	s_delay_alu instid0(TRANS32_DEP_2)
	v_ldexp_f32 v21, v21, v71
	v_ldexp_f32 v20, v20, v70
	;; [unrolled: 1-line block ×3, first 2 shown]
	v_cndmask_b32_e64 v64, 0, v64, s12
	v_fma_f32 v103, 0x3fb8aa3b, v60, -v82
	v_cndmask_b32_e64 v21, 0, v21, s2
	v_rndne_f32_e32 v104, v82
	v_rndne_f32_e32 v106, v83
	v_dual_fmac_f32 v105, 0x32a5705f, v67 :: v_dual_cndmask_b32 v20, 0, v20
	v_cndmask_b32_e64 v62, 0, v62, s3
	v_cndmask_b32_e64 v64, 0x7f800000, v64, s25
	v_cndmask_b32_e64 v21, 0x7f800000, v21, s15
	v_cmp_ngt_f32_e64 s4, 0xc2ce8ed0, v63
	v_cmp_ngt_f32_e64 s9, 0xc2ce8ed0, v60
	;; [unrolled: 1-line block ×3, first 2 shown]
	v_cmp_nlt_f32_e64 s17, 0x42b17218, v63
	v_cmp_nlt_f32_e64 s22, 0x42b17218, v60
	;; [unrolled: 1-line block ×3, first 2 shown]
	v_rndne_f32_e32 v100, v80
	v_fma_f32 v101, 0x3fb8aa3b, v65, -v81
	v_rndne_f32_e32 v102, v81
	v_fmac_f32_e32 v93, 0x32a5705f, v63
	v_sub_f32_e32 v63, v73, v94
	v_sub_f32_e32 v67, v83, v106
	v_cndmask_b32_e64 v69, 0x7f800000, v20, s13
	v_add_f32_e32 v20, v21, v64
	v_cndmask_b32_e64 v62, 0x7f800000, v62, s16
	v_fmac_f32_e32 v103, 0x32a5705f, v60
	v_sub_f32_e32 v60, v82, v104
	v_cmp_ngt_f32_e64 s7, 0xc2ce8ed0, v66
	v_cmp_ngt_f32_e64 s8, 0xc2ce8ed0, v65
	v_fmac_f32_e32 v20, v58, v62
	v_cmp_nlt_f32_e64 s20, 0x42b17218, v66
	v_cmp_nlt_f32_e64 s21, 0x42b17218, v65
	v_dual_sub_f32 v66, v80, v100 :: v_dual_fmac_f32 v101, 0x32a5705f, v65
	v_dual_sub_f32 v65, v81, v102 :: v_dual_add_f32 v60, v60, v103
	v_cvt_i32_f32_e32 v82, v104
	s_delay_alu instid0(VALU_DEP_3) | instskip(SKIP_1) | instid1(VALU_DEP_4)
	v_dual_add_f32 v66, v66, v99 :: v_dual_add_f32 v67, v67, v105
	v_cvt_i32_f32_e32 v74, v96
	v_exp_f32_e32 v60, v60
	v_cvt_i32_f32_e32 v80, v100
	s_delay_alu instid0(VALU_DEP_3)
	v_exp_f32_e32 v66, v66
	v_exp_f32_e32 v67, v67
	v_cvt_i32_f32_e32 v83, v106
	v_fma_f32 v107, 0x3fb8aa3b, v59, -v84
	v_rndne_f32_e32 v108, v84
	v_cmp_ngt_f32_e64 s11, 0xc2ce8ed0, v59
	v_cmp_nlt_f32_e64 s24, 0x42b17218, v59
	v_add_f32_e32 v63, v63, v93
	v_ldexp_f32 v60, v60, v82
	v_add_f32_e32 v65, v65, v101
	v_ldexp_f32 v66, v66, v80
	v_ldexp_f32 v67, v67, v83
	v_exp_f32_e32 v63, v63
	v_cndmask_b32_e64 v60, 0, v60, s9
	v_exp_f32_e32 v65, v65
	v_cndmask_b32_e64 v66, 0, v66, s7
	v_cndmask_b32_e64 v67, 0, v67, s10
	v_cvt_i32_f32_e32 v73, v94
	v_cndmask_b32_e64 v129, 0x7f800000, v60, s22
	v_add_f32_e32 v61, v61, v95
	v_cvt_i32_f32_e32 v81, v102
	v_cndmask_b32_e64 v60, 0x7f800000, v67, s23
	v_ldexp_f32 v63, v63, v73
	v_cvt_f16_f32_e32 v64, v64
	v_exp_f32_e32 v61, v61
	v_ldexp_f32 v65, v65, v81
	v_cvt_f16_f32_e32 v67, v127
	v_cndmask_b32_e64 v63, 0, v63, s4
	v_cvt_f16_f32_e64 v131, v62
	v_cvt_f16_f32_e64 v133, v129
	v_cndmask_b32_e64 v65, 0, v65, s8
	s_delay_alu instid0(VALU_DEP_4) | instskip(NEXT) | instid1(VALU_DEP_4)
	v_cndmask_b32_e64 v63, 0x7f800000, v63, s17
	v_pk_mul_f16 v56, v131, v56 op_sel_hi:[0,1]
	s_delay_alu instid0(TRANS32_DEP_1) | instskip(NEXT) | instid1(VALU_DEP_4)
	v_ldexp_f32 v61, v61, v74
	v_cndmask_b32_e64 v128, 0x7f800000, v65, s21
	v_cvt_f16_f32_e32 v65, v69
	v_pk_mul_f16 v135, v133, v52 op_sel_hi:[0,1]
	s_delay_alu instid0(VALU_DEP_4) | instskip(NEXT) | instid1(VALU_DEP_4)
	v_cndmask_b32_e64 v61, 0, v61, s5
	v_cvt_f16_f32_e64 v68, v128
	s_delay_alu instid0(VALU_DEP_2)
	v_cndmask_b32_e64 v126, 0x7f800000, v61, s18
	v_cndmask_b32_e64 v61, 0x7f800000, v66, s20
	v_fmac_f32_e32 v107, 0x32a5705f, v59
	v_sub_f32_e32 v59, v84, v108
	v_cvt_i32_f32_e32 v84, v108
	v_cvt_f16_f32_e32 v66, v21
	v_add_f32_e32 v134, v61, v60
	v_add_f32_e32 v21, v69, v63
	;; [unrolled: 1-line block ×3, first 2 shown]
	v_cvt_f16_f32_e32 v63, v63
	v_cvt_f16_f32_e32 v60, v60
	v_pack_b32_f16 v58, v66, v65
	v_cvt_f16_f32_e64 v132, v126
	v_exp_f32_e32 v59, v59
	v_fmac_f32_e32 v21, v57, v126
	s_delay_alu instid0(VALU_DEP_2) | instskip(SKIP_2) | instid1(VALU_DEP_1)
	v_pk_mul_f16 v54, v132, v54 op_sel_hi:[0,1]
	s_waitcnt_depctr 0xfff
	v_ldexp_f32 v59, v59, v84
	v_cndmask_b32_e64 v59, 0, v59, s11
	s_delay_alu instid0(VALU_DEP_1) | instskip(SKIP_3) | instid1(VALU_DEP_4)
	v_cndmask_b32_e64 v130, 0x7f800000, v59, s24
	v_cvt_f16_f32_e32 v59, v61
	v_pack_b32_f16 v61, v67, v60
	v_pack_b32_f16 v60, v64, v63
	v_cvt_f16_f32_e64 v69, v130
	s_delay_alu instid0(VALU_DEP_4)
	v_pack_b32_f16 v59, v68, v59
	ds_store_2addr_b64 v43, v[58:59], v[60:61] offset1:32
	s_waitcnt vmcnt(1)
	ds_store_b128 v40, v[22:25]
	s_waitcnt vmcnt(0)
	ds_store_b128 v41, v[76:79]
	v_pk_mul_f16 v136, v69, v50 op_sel_hi:[0,1]
	v_pk_mul_f16 v137, v69, v49 op_sel_hi:[0,1]
	s_waitcnt lgkmcnt(0)
	s_barrier
	buffer_gl0_inv
	ds_load_2addr_b64 v[22:25], v45 offset1:32
	ds_load_b128 v[58:61], v39
	ds_load_b128 v[62:65], v39 offset:16
	ds_load_b128 v[66:69], v39 offset:32
	;; [unrolled: 1-line block ×3, first 2 shown]
	ds_load_2addr_b64 v[74:77], v45 offset0:64 offset1:96
	ds_load_2addr_b64 v[78:81], v45 offset0:128 offset1:160
	;; [unrolled: 1-line block ×3, first 2 shown]
	ds_load_2addr_b64 v[86:89], v46 offset1:32
	ds_load_2addr_b64 v[90:93], v46 offset0:64 offset1:96
	ds_load_b128 v[94:97], v39 offset:64
	ds_load_b128 v[98:101], v39 offset:80
	ds_load_2addr_b64 v[102:105], v46 offset0:128 offset1:160
	ds_load_2addr_b64 v[106:109], v46 offset0:192 offset1:224
	ds_load_b128 v[110:113], v39 offset:96
	ds_load_b128 v[114:117], v39 offset:112
	ds_load_2addr_b64 v[118:121], v47 offset1:32
	ds_load_2addr_b64 v[122:125], v47 offset0:64 offset1:96
	s_waitcnt lgkmcnt(16)
	v_pk_mul_f16 v49, v22, v58 op_sel_hi:[1,0]
	v_pk_mul_f16 v50, v22, v59 op_sel_hi:[1,0]
	v_pk_fma_f16 v56, v23, v58, v56 op_sel_hi:[1,0,1]
	v_pk_fma_f16 v54, v23, v58, v54 op_sel:[0,1,0]
	s_delay_alu instid0(VALU_DEP_4)
	v_pk_fma_f16 v55, v131, v55, v49 op_sel_hi:[0,1,1]
	v_pk_mul_f16 v49, v22, v58 op_sel:[0,1]
	v_pk_fma_f16 v131, v133, v51, v50 op_sel_hi:[0,1,1]
	v_pk_fma_f16 v22, v22, v59, v136 op_sel:[0,1,0]
	v_pk_fma_f16 v58, v23, v59, v135 op_sel_hi:[1,0,1]
	v_pk_fma_f16 v23, v23, v59, v137 op_sel:[0,1,0]
	v_pk_fma_f16 v53, v132, v53, v49 op_sel_hi:[0,1,1]
	v_pk_fma_f16 v132, v25, v60, v56 op_sel_hi:[1,0,1]
	v_pk_fma_f16 v59, v24, v61, v22 op_sel:[0,1,0]
	v_pk_fma_f16 v133, v25, v60, v54 op_sel:[0,1,0]
	v_pk_fma_f16 v58, v25, v61, v58 op_sel_hi:[1,0,1]
	v_pk_fma_f16 v135, v25, v61, v23 op_sel:[0,1,0]
	v_pk_fma_f16 v136, v24, v60, v55 op_sel_hi:[1,0,1]
	;; [unrolled: 2-line block ×3, first 2 shown]
	s_waitcnt lgkmcnt(12)
	v_pk_fma_f16 v59, v74, v63, v59 op_sel:[0,1,0]
	v_pk_fma_f16 v131, v75, v62, v132 op_sel_hi:[1,0,1]
	v_pk_fma_f16 v132, v75, v62, v133 op_sel:[0,1,0]
	v_pk_fma_f16 v58, v75, v63, v58 op_sel_hi:[1,0,1]
	;; [unrolled: 2-line block ×3, first 2 shown]
	v_mov_b32_e32 v136, v34
	v_pk_fma_f16 v60, v74, v62, v60 op_sel:[0,1,0]
	v_pk_fma_f16 v61, v74, v63, v61 op_sel_hi:[1,0,1]
	v_pk_fma_f16 v74, v76, v65, v59 op_sel:[0,1,0]
	v_pk_fma_f16 v131, v77, v64, v131 op_sel_hi:[1,0,1]
	v_pk_fma_f16 v132, v77, v64, v132 op_sel:[0,1,0]
	v_pk_fma_f16 v135, v77, v65, v58 op_sel_hi:[1,0,1]
	v_pk_fma_f16 v75, v77, v65, v75 op_sel:[0,1,0]
	v_pk_fma_f16 v77, v76, v64, v133 op_sel_hi:[1,0,1]
	v_pk_fma_f16 v133, v76, v64, v60 op_sel:[0,1,0]
	v_pk_fma_f16 v76, v76, v65, v61 op_sel_hi:[1,0,1]
	s_waitcnt lgkmcnt(11)
	v_pk_fma_f16 v74, v78, v67, v74 op_sel:[0,1,0]
	v_pk_fma_f16 v131, v79, v66, v131 op_sel_hi:[1,0,1]
	v_pk_fma_f16 v132, v79, v66, v132 op_sel:[0,1,0]
	v_pk_fma_f16 v135, v79, v67, v135 op_sel_hi:[1,0,1]
	v_pk_fma_f16 v75, v79, v67, v75 op_sel:[0,1,0]
	v_pk_fma_f16 v77, v78, v66, v77 op_sel_hi:[1,0,1]
	v_pk_fma_f16 v66, v78, v66, v133 op_sel:[0,1,0]
	v_pk_fma_f16 v67, v78, v67, v76 op_sel_hi:[1,0,1]
	v_pk_fma_f16 v78, v80, v69, v74 op_sel:[0,1,0]
	v_pk_fma_f16 v79, v81, v68, v131 op_sel_hi:[1,0,1]
	v_pk_fma_f16 v131, v81, v68, v132 op_sel:[0,1,0]
	v_pk_fma_f16 v132, v81, v69, v135 op_sel_hi:[1,0,1]
	v_pk_fma_f16 v81, v81, v69, v75 op_sel:[0,1,0]
	v_pk_fma_f16 v133, v80, v68, v77 op_sel_hi:[1,0,1]
	v_pk_fma_f16 v135, v80, v68, v66 op_sel:[0,1,0]
	v_pk_fma_f16 v80, v80, v69, v67 op_sel_hi:[1,0,1]
	s_waitcnt lgkmcnt(10)
	v_pk_fma_f16 v78, v82, v71, v78 op_sel:[0,1,0]
	v_pk_fma_f16 v79, v83, v70, v79 op_sel_hi:[1,0,1]
	v_pk_fma_f16 v131, v83, v70, v131 op_sel:[0,1,0]
	v_pk_fma_f16 v132, v83, v71, v132 op_sel_hi:[1,0,1]
	v_pk_fma_f16 v81, v83, v71, v81 op_sel:[0,1,0]
	v_pk_fma_f16 v83, v82, v70, v133 op_sel_hi:[1,0,1]
	v_pk_fma_f16 v70, v82, v70, v135 op_sel:[0,1,0]
	v_pk_fma_f16 v71, v82, v71, v80 op_sel_hi:[1,0,1]
	v_pk_fma_f16 v82, v84, v73, v78 op_sel:[0,1,0]
	v_pk_fma_f16 v133, v85, v72, v79 op_sel_hi:[1,0,1]
	v_pk_fma_f16 v131, v85, v72, v131 op_sel:[0,1,0]
	v_pk_fma_f16 v132, v85, v73, v132 op_sel_hi:[1,0,1]
	v_pk_fma_f16 v85, v85, v73, v81 op_sel:[0,1,0]
	v_pk_fma_f16 v83, v84, v72, v83 op_sel_hi:[1,0,1]
	v_pk_fma_f16 v135, v84, v72, v70 op_sel:[0,1,0]
	v_pk_fma_f16 v84, v84, v73, v71 op_sel_hi:[1,0,1]
	s_waitcnt lgkmcnt(7)
	v_pk_fma_f16 v82, v86, v95, v82 op_sel:[0,1,0]
	v_pk_fma_f16 v133, v87, v94, v133 op_sel_hi:[1,0,1]
	v_pk_fma_f16 v131, v87, v94, v131 op_sel:[0,1,0]
	v_pk_fma_f16 v132, v87, v95, v132 op_sel_hi:[1,0,1]
	v_pk_fma_f16 v85, v87, v95, v85 op_sel:[0,1,0]
	v_pk_fma_f16 v83, v86, v94, v83 op_sel_hi:[1,0,1]
	v_pk_fma_f16 v87, v86, v94, v135 op_sel:[0,1,0]
	v_pk_fma_f16 v84, v86, v95, v84 op_sel_hi:[1,0,1]
	v_pk_fma_f16 v94, v88, v97, v82 op_sel:[0,1,0]
	v_pk_fma_f16 v95, v89, v96, v133 op_sel_hi:[1,0,1]
	v_pk_fma_f16 v131, v89, v96, v131 op_sel:[0,1,0]
	v_pk_fma_f16 v132, v89, v97, v132 op_sel_hi:[1,0,1]
	v_pk_fma_f16 v133, v89, v97, v85 op_sel:[0,1,0]
	v_pk_fma_f16 v135, v88, v96, v83 op_sel_hi:[1,0,1]
	v_pk_fma_f16 v96, v88, v96, v87 op_sel:[0,1,0]
	v_pk_fma_f16 v97, v88, v97, v84 op_sel_hi:[1,0,1]
	s_waitcnt lgkmcnt(6)
	v_pk_fma_f16 v94, v90, v99, v94 op_sel:[0,1,0]
	v_pk_fma_f16 v95, v91, v98, v95 op_sel_hi:[1,0,1]
	v_pk_fma_f16 v131, v91, v98, v131 op_sel:[0,1,0]
	v_pk_fma_f16 v132, v91, v99, v132 op_sel_hi:[1,0,1]
	v_pk_fma_f16 v91, v91, v99, v133 op_sel:[0,1,0]
	v_pk_fma_f16 v133, v90, v98, v135 op_sel_hi:[1,0,1]
	v_pk_fma_f16 v96, v90, v98, v96 op_sel:[0,1,0]
	v_pk_fma_f16 v90, v90, v99, v97 op_sel_hi:[1,0,1]
	v_pk_fma_f16 v98, v92, v101, v94 op_sel:[0,1,0]
	v_pk_fma_f16 v99, v93, v100, v95 op_sel_hi:[1,0,1]
	v_pk_fma_f16 v131, v93, v100, v131 op_sel:[0,1,0]
	v_pk_fma_f16 v132, v93, v101, v132 op_sel_hi:[1,0,1]
	v_pk_fma_f16 v135, v93, v101, v91 op_sel:[0,1,0]
	v_pk_fma_f16 v133, v92, v100, v133 op_sel_hi:[1,0,1]
	v_pk_fma_f16 v100, v92, v100, v96 op_sel:[0,1,0]
	v_pk_fma_f16 v101, v92, v101, v90 op_sel_hi:[1,0,1]
	s_waitcnt lgkmcnt(3)
	v_pk_fma_f16 v98, v102, v111, v98 op_sel:[0,1,0]
	v_pk_fma_f16 v99, v103, v110, v99 op_sel_hi:[1,0,1]
	v_pk_fma_f16 v131, v103, v110, v131 op_sel:[0,1,0]
	v_pk_fma_f16 v132, v103, v111, v132 op_sel_hi:[1,0,1]
	v_pk_fma_f16 v103, v103, v111, v135 op_sel:[0,1,0]
	v_pk_fma_f16 v133, v102, v110, v133 op_sel_hi:[1,0,1]
	v_pk_fma_f16 v100, v102, v110, v100 op_sel:[0,1,0]
	v_pk_fma_f16 v101, v102, v111, v101 op_sel_hi:[1,0,1]
	ds_load_b128 v[49:52], v39 offset:128
	ds_load_b128 v[22:25], v39 offset:144
	ds_load_2addr_b64 v[53:56], v47 offset0:128 offset1:160
	ds_load_2addr_b64 v[58:61], v47 offset0:192 offset1:224
	ds_load_b128 v[62:65], v39 offset:160
	ds_load_b128 v[66:69], v39 offset:176
	ds_load_2addr_b64 v[74:77], v48 offset1:32
	ds_load_2addr_b64 v[70:73], v48 offset0:64 offset1:96
	ds_load_b128 v[78:81], v39 offset:192
	ds_load_b128 v[82:85], v39 offset:208
	ds_load_2addr_b64 v[86:89], v48 offset0:128 offset1:160
	ds_load_2addr_b64 v[90:93], v48 offset0:192 offset1:224
	ds_load_b128 v[94:97], v39 offset:224
	v_pk_fma_f16 v110, v104, v113, v98 op_sel:[0,1,0]
	v_pk_fma_f16 v111, v105, v112, v99 op_sel_hi:[1,0,1]
	v_pk_fma_f16 v131, v105, v112, v131 op_sel:[0,1,0]
	v_pk_fma_f16 v132, v105, v113, v132 op_sel_hi:[1,0,1]
	;; [unrolled: 2-line block ×4, first 2 shown]
	ds_load_b128 v[98:101], v39 offset:240
	s_waitcnt lgkmcnt(0)
	s_barrier
	buffer_gl0_inv
	s_clause 0x1
	global_load_b128 v[102:105], v[18:19], off
	global_load_b128 v[16:19], v[16:17], off
	v_add_f32_e32 v34, v128, v127
	v_pk_fma_f16 v57, v106, v115, v110 op_sel:[0,1,0]
	v_pk_fma_f16 v110, v107, v114, v111 op_sel_hi:[1,0,1]
	v_pk_fma_f16 v111, v107, v114, v131 op_sel:[0,1,0]
	v_pk_fma_f16 v126, v107, v115, v132 op_sel_hi:[1,0,1]
	;; [unrolled: 2-line block ×64, first 2 shown]
	v_mov_b32_e32 v137, v33
	v_mov_b32_e32 v33, v134
	v_pk_fma_f16 v24, v90, v99, v24 op_sel:[0,1,0]
	v_pk_fma_f16 v25, v91, v98, v25 op_sel_hi:[1,0,1]
	v_pk_fma_f16 v49, v91, v98, v49 op_sel:[0,1,0]
	v_pk_fma_f16 v50, v91, v99, v50 op_sel_hi:[1,0,1]
	;; [unrolled: 2-line block ×4, first 2 shown]
	v_dual_fmac_f32 v34, v136, v129 :: v_dual_fmac_f32 v33, v137, v130
	v_pk_fma_f16 v125, v92, v101, v24 op_sel:[0,1,0]
	v_pk_fma_f16 v126, v93, v100, v25 op_sel_hi:[1,0,1]
	v_pk_fma_f16 v127, v93, v100, v49 op_sel:[0,1,0]
	v_pk_fma_f16 v128, v93, v101, v50 op_sel_hi:[1,0,1]
	;; [unrolled: 2-line block ×4, first 2 shown]
	s_waitcnt vmcnt(1)
	ds_store_b128 v40, v[102:105]
	s_waitcnt vmcnt(0)
	ds_store_b128 v41, v[16:19]
	s_waitcnt lgkmcnt(0)
	s_barrier
	buffer_gl0_inv
	ds_load_2addr_b64 v[16:19], v45 offset1:32
	ds_load_b128 v[22:25], v39 offset:256
	ds_load_b128 v[49:52], v39 offset:272
	;; [unrolled: 1-line block ×4, first 2 shown]
	ds_load_2addr_b64 v[61:64], v45 offset0:64 offset1:96
	ds_load_2addr_b64 v[65:68], v45 offset0:128 offset1:160
	;; [unrolled: 1-line block ×3, first 2 shown]
	ds_load_2addr_b64 v[73:76], v46 offset1:32
	ds_load_2addr_b64 v[77:80], v46 offset0:64 offset1:96
	ds_load_b128 v[81:84], v39 offset:320
	ds_load_b128 v[85:88], v39 offset:336
	ds_load_2addr_b64 v[89:92], v46 offset0:128 offset1:160
	ds_load_2addr_b64 v[93:96], v46 offset0:192 offset1:224
	ds_load_b128 v[97:100], v39 offset:352
	ds_load_b128 v[101:104], v39 offset:368
	ds_load_2addr_b64 v[105:108], v47 offset1:32
	ds_load_2addr_b64 v[109:112], v47 offset0:64 offset1:96
	ds_load_b128 v[113:116], v39 offset:384
	ds_load_b128 v[117:120], v39 offset:400
	ds_load_2addr_b64 v[121:124], v47 offset0:128 offset1:160
	s_waitcnt lgkmcnt(19)
	v_pk_fma_f16 v130, v16, v22, v130 op_sel_hi:[1,0,1]
	v_pk_fma_f16 v131, v16, v22, v131 op_sel:[0,1,0]
	v_pk_fma_f16 v132, v16, v23, v132 op_sel_hi:[1,0,1]
	v_pk_fma_f16 v16, v16, v23, v125 op_sel:[0,1,0]
	v_pk_fma_f16 v125, v17, v22, v126 op_sel_hi:[1,0,1]
	v_pk_fma_f16 v22, v17, v22, v127 op_sel:[0,1,0]
	v_pk_fma_f16 v126, v17, v23, v128 op_sel_hi:[1,0,1]
	v_pk_fma_f16 v17, v17, v23, v129 op_sel:[0,1,0]
	v_pk_fma_f16 v127, v18, v24, v130 op_sel_hi:[1,0,1]
	v_pk_fma_f16 v128, v18, v24, v131 op_sel:[0,1,0]
	v_pk_fma_f16 v129, v18, v25, v132 op_sel_hi:[1,0,1]
	v_pk_fma_f16 v130, v18, v25, v16 op_sel:[0,1,0]
	v_pk_fma_f16 v125, v19, v24, v125 op_sel_hi:[1,0,1]
	v_pk_fma_f16 v131, v19, v24, v22 op_sel:[0,1,0]
	v_pk_fma_f16 v126, v19, v25, v126 op_sel_hi:[1,0,1]
	v_pk_fma_f16 v132, v19, v25, v17 op_sel:[0,1,0]
	s_waitcnt lgkmcnt(15)
	v_pk_fma_f16 v127, v61, v49, v127 op_sel_hi:[1,0,1]
	v_pk_fma_f16 v128, v61, v49, v128 op_sel:[0,1,0]
	v_pk_fma_f16 v129, v61, v50, v129 op_sel_hi:[1,0,1]
	v_pk_fma_f16 v61, v61, v50, v130 op_sel:[0,1,0]
	v_pk_fma_f16 v125, v62, v49, v125 op_sel_hi:[1,0,1]
	v_pk_fma_f16 v49, v62, v49, v131 op_sel:[0,1,0]
	v_pk_fma_f16 v126, v62, v50, v126 op_sel_hi:[1,0,1]
	v_pk_fma_f16 v50, v62, v50, v132 op_sel:[0,1,0]
	v_pk_fma_f16 v127, v63, v51, v127 op_sel_hi:[1,0,1]
	v_pk_fma_f16 v128, v63, v51, v128 op_sel:[0,1,0]
	v_pk_fma_f16 v129, v63, v52, v129 op_sel_hi:[1,0,1]
	v_pk_fma_f16 v130, v63, v52, v61 op_sel:[0,1,0]
	v_pk_fma_f16 v125, v64, v51, v125 op_sel_hi:[1,0,1]
	v_pk_fma_f16 v131, v64, v51, v49 op_sel:[0,1,0]
	v_pk_fma_f16 v126, v64, v52, v126 op_sel_hi:[1,0,1]
	v_pk_fma_f16 v132, v64, v52, v50 op_sel:[0,1,0]
	;; [unrolled: 17-line block ×8, first 2 shown]
	ds_load_2addr_b64 v[16:19], v47 offset0:192 offset1:224
	ds_load_b128 v[22:25], v39 offset:416
	s_waitcnt lgkmcnt(4)
	v_pk_fma_f16 v86, v105, v113, v86 op_sel_hi:[1,0,1]
	v_pk_fma_f16 v90, v105, v113, v90 op_sel:[0,1,0]
	v_pk_fma_f16 v92, v105, v114, v92 op_sel_hi:[1,0,1]
	v_pk_fma_f16 v89, v105, v114, v89 op_sel:[0,1,0]
	;; [unrolled: 2-line block ×8, first 2 shown]
	s_waitcnt lgkmcnt(3)
	v_pk_fma_f16 v86, v109, v117, v86 op_sel_hi:[1,0,1]
	v_pk_fma_f16 v90, v109, v117, v90 op_sel:[0,1,0]
	v_pk_fma_f16 v92, v109, v118, v92 op_sel_hi:[1,0,1]
	v_pk_fma_f16 v89, v109, v118, v89 op_sel:[0,1,0]
	;; [unrolled: 2-line block ×4, first 2 shown]
	ds_load_b128 v[49:52], v39 offset:432
	ds_load_2addr_b64 v[61:64], v48 offset1:32
	v_pk_fma_f16 v86, v111, v119, v86 op_sel_hi:[1,0,1]
	v_pk_fma_f16 v90, v111, v119, v90 op_sel:[0,1,0]
	v_pk_fma_f16 v92, v111, v120, v92 op_sel_hi:[1,0,1]
	v_pk_fma_f16 v89, v111, v120, v89 op_sel:[0,1,0]
	v_pk_fma_f16 v91, v112, v119, v91 op_sel_hi:[1,0,1]
	v_pk_fma_f16 v85, v112, v119, v85 op_sel:[0,1,0]
	v_pk_fma_f16 v87, v112, v120, v87 op_sel_hi:[1,0,1]
	v_pk_fma_f16 v88, v112, v120, v88 op_sel:[0,1,0]
	ds_load_2addr_b64 v[53:56], v48 offset0:64 offset1:96
	ds_load_b128 v[65:68], v39 offset:448
	s_waitcnt lgkmcnt(4)
	v_pk_fma_f16 v86, v121, v22, v86 op_sel_hi:[1,0,1]
	v_pk_fma_f16 v90, v121, v22, v90 op_sel:[0,1,0]
	v_pk_fma_f16 v92, v121, v23, v92 op_sel_hi:[1,0,1]
	v_pk_fma_f16 v89, v121, v23, v89 op_sel:[0,1,0]
	;; [unrolled: 2-line block ×8, first 2 shown]
	s_waitcnt lgkmcnt(3)
	v_pk_fma_f16 v25, v16, v49, v86 op_sel_hi:[1,0,1]
	v_pk_fma_f16 v85, v16, v49, v87 op_sel:[0,1,0]
	v_pk_fma_f16 v86, v16, v50, v88 op_sel_hi:[1,0,1]
	v_pk_fma_f16 v16, v16, v50, v89 op_sel:[0,1,0]
	;; [unrolled: 2-line block ×4, first 2 shown]
	ds_load_b128 v[57:60], v39 offset:464
	ds_load_2addr_b64 v[69:72], v48 offset0:128 offset1:160
	v_pk_fma_f16 v23, v18, v51, v25 op_sel_hi:[1,0,1]
	v_pk_fma_f16 v25, v18, v51, v85 op_sel:[0,1,0]
	v_pk_fma_f16 v49, v18, v52, v86 op_sel_hi:[1,0,1]
	v_pk_fma_f16 v16, v18, v52, v16 op_sel:[0,1,0]
	;; [unrolled: 2-line block ×4, first 2 shown]
	ds_load_2addr_b64 v[73:76], v48 offset0:192 offset1:224
	ds_load_b128 v[81:84], v39 offset:480
	s_waitcnt lgkmcnt(4)
	v_pk_fma_f16 v19, v61, v65, v23 op_sel_hi:[1,0,1]
	v_pk_fma_f16 v23, v61, v65, v25 op_sel:[0,1,0]
	v_pk_fma_f16 v25, v61, v66, v49 op_sel_hi:[1,0,1]
	v_pk_fma_f16 v16, v61, v66, v16 op_sel:[0,1,0]
	;; [unrolled: 2-line block ×8, first 2 shown]
	ds_load_b128 v[77:80], v39 offset:496
	s_waitcnt lgkmcnt(4)
	v_pk_fma_f16 v19, v53, v57, v19 op_sel_hi:[1,0,1]
	v_pk_fma_f16 v23, v53, v57, v23 op_sel:[0,1,0]
	v_pk_fma_f16 v25, v53, v58, v25 op_sel_hi:[1,0,1]
	v_pk_fma_f16 v16, v53, v58, v16 op_sel:[0,1,0]
	;; [unrolled: 2-line block ×4, first 2 shown]
	s_waitcnt lgkmcnt(0)
	s_barrier
	buffer_gl0_inv
	s_load_b32 s2, s[34:35], 0x4
	v_pk_fma_f16 v19, v55, v59, v19 op_sel_hi:[1,0,1]
	v_pk_fma_f16 v23, v55, v59, v23 op_sel:[0,1,0]
	v_pk_fma_f16 v25, v55, v60, v25 op_sel_hi:[1,0,1]
	v_pk_fma_f16 v16, v55, v60, v16 op_sel:[0,1,0]
	v_pk_fma_f16 v18, v56, v59, v18 op_sel_hi:[1,0,1]
	v_pk_fma_f16 v22, v56, v59, v22 op_sel:[0,1,0]
	v_pk_fma_f16 v24, v56, v60, v24 op_sel_hi:[1,0,1]
	v_pk_fma_f16 v17, v56, v60, v17 op_sel:[0,1,0]
	v_pk_fma_f16 v19, v69, v81, v19 op_sel_hi:[1,0,1]
	v_pk_fma_f16 v23, v69, v81, v23 op_sel:[0,1,0]
	v_pk_fma_f16 v25, v69, v82, v25 op_sel_hi:[1,0,1]
	v_pk_fma_f16 v16, v69, v82, v16 op_sel:[0,1,0]
	v_pk_fma_f16 v18, v70, v81, v18 op_sel_hi:[1,0,1]
	v_pk_fma_f16 v22, v70, v81, v22 op_sel:[0,1,0]
	v_pk_fma_f16 v24, v70, v82, v24 op_sel_hi:[1,0,1]
	v_pk_fma_f16 v17, v70, v82, v17 op_sel:[0,1,0]
	v_pk_fma_f16 v19, v71, v83, v19 op_sel_hi:[1,0,1]
	v_pk_fma_f16 v23, v71, v83, v23 op_sel:[0,1,0]
	v_pk_fma_f16 v25, v71, v84, v25 op_sel_hi:[1,0,1]
	v_pk_fma_f16 v16, v71, v84, v16 op_sel:[0,1,0]
	v_pk_fma_f16 v18, v72, v83, v18 op_sel_hi:[1,0,1]
	v_pk_fma_f16 v22, v72, v83, v22 op_sel:[0,1,0]
	v_pk_fma_f16 v24, v72, v84, v24 op_sel_hi:[1,0,1]
	v_pk_fma_f16 v17, v72, v84, v17 op_sel:[0,1,0]
	v_pk_fma_f16 v19, v73, v77, v19 op_sel_hi:[1,0,1]
	v_pk_fma_f16 v23, v73, v77, v23 op_sel:[0,1,0]
	v_pk_fma_f16 v25, v73, v78, v25 op_sel_hi:[1,0,1]
	v_pk_fma_f16 v16, v73, v78, v16 op_sel:[0,1,0]
	v_pk_fma_f16 v18, v74, v77, v18 op_sel_hi:[1,0,1]
	v_pk_fma_f16 v22, v74, v77, v22 op_sel:[0,1,0]
	v_pk_fma_f16 v24, v74, v78, v24 op_sel_hi:[1,0,1]
	v_pk_fma_f16 v17, v74, v78, v17 op_sel:[0,1,0]
	s_waitcnt lgkmcnt(0)
	s_lshl_b32 s2, s2, 6
	v_pk_fma_f16 v55, v75, v79, v19 op_sel_hi:[1,0,1]
	v_pk_fma_f16 v53, v75, v79, v23 op_sel:[0,1,0]
	v_pk_fma_f16 v51, v75, v80, v25 op_sel_hi:[1,0,1]
	v_pk_fma_f16 v50, v75, v80, v16 op_sel:[0,1,0]
	;; [unrolled: 2-line block ×4, first 2 shown]
	s_add_i32 s29, s2, s29
	s_delay_alu instid0(SALU_CYCLE_1)
	s_cmp_ge_i32 s29, s28
	s_cbranch_scc0 .LBB9_17
; %bb.18:
	v_dual_mov_b32 v5, 32 :: v_dual_mov_b32 v8, v11
.LBB9_19:
	s_delay_alu instid0(VALU_DEP_1)
	v_cmp_lt_i32_e32 vcc_lo, v32, v5
	s_cmp_lg_u64 s[44:45], 0
	s_cselect_b32 s2, -1, 0
	s_cmp_eq_u32 s14, 0
	v_cndmask_b32_e32 v4, v8, v32, vcc_lo
	v_cmp_lt_i32_e32 vcc_lo, v31, v5
	s_cselect_b32 s3, -1, 0
	s_delay_alu instid0(SALU_CYCLE_1) | instskip(NEXT) | instid1(VALU_DEP_2)
	s_and_b32 s2, s3, s2
	v_lshlrev_b32_e32 v4, 2, v4
	ds_bpermute_b32 v9, v4, v34
	s_waitcnt lgkmcnt(0)
	v_add_f32_e32 v9, v34, v9
	ds_bpermute_b32 v7, v4, v21
	ds_bpermute_b32 v6, v4, v20
	;; [unrolled: 1-line block ×3, first 2 shown]
	s_waitcnt lgkmcnt(2)
	v_add_f32_e32 v7, v21, v7
	v_cndmask_b32_e32 v10, v8, v31, vcc_lo
	v_cmp_lt_i32_e32 vcc_lo, v30, v5
	s_waitcnt lgkmcnt(0)
	v_add_f32_e32 v4, v33, v4
	s_delay_alu instid0(VALU_DEP_3)
	v_lshlrev_b32_e32 v10, 2, v10
	v_cndmask_b32_e32 v16, v8, v30, vcc_lo
	v_cmp_lt_i32_e32 vcc_lo, v29, v5
	ds_bpermute_b32 v15, v10, v9
	s_waitcnt lgkmcnt(0)
	v_add_f32_e32 v9, v9, v15
	ds_bpermute_b32 v14, v10, v7
	s_waitcnt lgkmcnt(0)
	v_dual_add_f32 v7, v7, v14 :: v_dual_lshlrev_b32 v16, 2, v16
	v_add_f32_e32 v6, v20, v6
	ds_bpermute_b32 v14, v16, v9
	ds_bpermute_b32 v11, v10, v6
	;; [unrolled: 1-line block ×3, first 2 shown]
	s_waitcnt lgkmcnt(1)
	v_dual_add_f32 v9, v9, v14 :: v_dual_add_f32 v6, v6, v11
	s_waitcnt lgkmcnt(0)
	v_add_f32_e32 v4, v4, v10
	ds_bpermute_b32 v11, v16, v7
	ds_bpermute_b32 v10, v16, v6
	;; [unrolled: 1-line block ×3, first 2 shown]
	v_cndmask_b32_e32 v16, v8, v29, vcc_lo
	v_cmp_lt_i32_e32 vcc_lo, v28, v5
	v_cndmask_b32_e32 v5, v8, v28, vcc_lo
	s_and_b32 vcc_lo, exec_lo, s2
	s_delay_alu instid0(VALU_DEP_1)
	v_lshlrev_b32_e32 v5, 2, v5
	s_waitcnt lgkmcnt(1)
	v_dual_add_f32 v7, v7, v11 :: v_dual_add_f32 v6, v6, v10
	s_waitcnt lgkmcnt(0)
	v_add_f32_e32 v4, v4, v15
	v_lshlrev_b32_e32 v16, 2, v16
	ds_bpermute_b32 v14, v16, v9
	ds_bpermute_b32 v15, v16, v4
	s_waitcnt lgkmcnt(0)
	v_dual_add_f32 v8, v9, v14 :: v_dual_add_f32 v9, v4, v15
	ds_bpermute_b32 v10, v16, v6
	ds_bpermute_b32 v11, v16, v7
	;; [unrolled: 1-line block ×3, first 2 shown]
	s_waitcnt lgkmcnt(1)
	v_dual_add_f32 v6, v6, v10 :: v_dual_add_f32 v7, v7, v11
	ds_bpermute_b32 v11, v5, v8
	ds_bpermute_b32 v4, v5, v6
	;; [unrolled: 1-line block ×3, first 2 shown]
	s_waitcnt lgkmcnt(0)
	v_dual_add_f32 v4, v6, v4 :: v_dual_add_f32 v5, v7, v10
	v_dual_add_f32 v6, v8, v11 :: v_dual_add_f32 v7, v9, v14
	s_cbranch_vccz .LBB9_22
; %bb.20:
	v_dual_max_f32 v15, v1, v1 :: v_dual_add_nc_u32 v8, s52, v26
	s_delay_alu instid0(VALU_DEP_1) | instskip(NEXT) | instid1(VALU_DEP_1)
	v_ashrrev_i32_e32 v9, 31, v8
	v_lshlrev_b64 v[8:9], 2, v[8:9]
	s_delay_alu instid0(VALU_DEP_1) | instskip(NEXT) | instid1(VALU_DEP_2)
	v_add_co_u32 v8, vcc_lo, s44, v8
	v_add_co_ci_u32_e32 v9, vcc_lo, s45, v9, vcc_lo
	global_load_b128 v[8:11], v[8:9], off
	v_max_f32_e32 v14, v0, v0
	s_waitcnt vmcnt(0)
	v_dual_max_f32 v16, v2, v2 :: v_dual_max_f32 v17, v8, v8
	v_dual_max_f32 v19, v9, v9 :: v_dual_max_f32 v20, v10, v10
	s_delay_alu instid0(VALU_DEP_2) | instskip(NEXT) | instid1(VALU_DEP_2)
	v_dual_max_f32 v21, v11, v11 :: v_dual_max_f32 v14, v14, v17
	v_dual_max_f32 v15, v15, v19 :: v_dual_max_f32 v16, v16, v20
	v_max_f32_e32 v18, v3, v3
	s_delay_alu instid0(VALU_DEP_2) | instskip(SKIP_1) | instid1(VALU_DEP_3)
	v_dual_sub_f32 v8, v8, v14 :: v_dual_sub_f32 v9, v9, v15
	v_sub_f32_e32 v19, v1, v15
	v_dual_max_f32 v17, v18, v21 :: v_dual_sub_f32 v18, v0, v14
	v_sub_f32_e32 v20, v2, v16
	s_delay_alu instid0(VALU_DEP_2)
	v_dual_sub_f32 v10, v10, v16 :: v_dual_sub_f32 v11, v11, v17
	v_dual_sub_f32 v21, v3, v17 :: v_dual_mov_b32 v0, v14
	v_dual_mov_b32 v1, v15 :: v_dual_mov_b32 v2, v16
	v_mov_b32_e32 v3, v17
	v_dual_mul_f32 v15, 0x3fb8aa3b, v8 :: v_dual_mul_f32 v14, 0x3fb8aa3b, v18
	v_dual_mul_f32 v17, 0x3fb8aa3b, v9 :: v_dual_mul_f32 v16, 0x3fb8aa3b, v19
	;; [unrolled: 1-line block ×3, first 2 shown]
	v_mul_f32_e32 v25, 0x3fb8aa3b, v11
	s_delay_alu instid0(VALU_DEP_4)
	v_fma_f32 v28, 0x3fb8aa3b, v18, -v14
	v_rndne_f32_e32 v29, v14
	v_fma_f32 v30, 0x3fb8aa3b, v8, -v15
	v_rndne_f32_e32 v31, v15
	v_rndne_f32_e32 v35, v17
	;; [unrolled: 1-line block ×3, first 2 shown]
	v_fmac_f32_e32 v28, 0x32a5705f, v18
	v_sub_f32_e32 v14, v14, v29
	v_dual_mul_f32 v24, 0x3fb8aa3b, v21 :: v_dual_sub_f32 v15, v15, v31
	v_fma_f32 v32, 0x3fb8aa3b, v19, -v16
	v_fma_f32 v34, 0x3fb8aa3b, v9, -v17
	;; [unrolled: 1-line block ×3, first 2 shown]
	v_rndne_f32_e32 v43, v25
	v_dual_fmac_f32 v30, 0x32a5705f, v8 :: v_dual_sub_f32 v17, v17, v35
	v_dual_sub_f32 v23, v23, v39 :: v_dual_add_f32 v14, v14, v28
	v_rndne_f32_e32 v33, v16
	v_fma_f32 v42, 0x3fb8aa3b, v11, -v25
	v_dual_fmac_f32 v38, 0x32a5705f, v10 :: v_dual_sub_f32 v25, v25, v43
	v_dual_fmac_f32 v32, 0x32a5705f, v19 :: v_dual_add_f32 v15, v15, v30
	v_exp_f32_e32 v14, v14
	v_cvt_i32_f32_e32 v29, v29
	s_delay_alu instid0(VALU_DEP_3) | instskip(SKIP_3) | instid1(VALU_DEP_3)
	v_dual_fmac_f32 v34, 0x32a5705f, v9 :: v_dual_add_f32 v23, v23, v38
	v_sub_f32_e32 v16, v16, v33
	v_exp_f32_e32 v15, v15
	v_fma_f32 v36, 0x3fb8aa3b, v20, -v22
	v_add_f32_e32 v17, v17, v34
	v_rndne_f32_e32 v37, v22
	v_cvt_i32_f32_e32 v31, v31
	v_add_f32_e32 v16, v16, v32
	v_ldexp_f32 v14, v14, v29
	v_cmp_ngt_f32_e32 vcc_lo, 0xc2ce8ed0, v18
	v_fmac_f32_e32 v42, 0x32a5705f, v11
	v_fmac_f32_e32 v36, 0x32a5705f, v20
	v_exp_f32_e32 v16, v16
	v_ldexp_f32 v15, v15, v31
	v_cndmask_b32_e32 v14, 0, v14, vcc_lo
	v_cmp_ngt_f32_e32 vcc_lo, 0xc2ce8ed0, v8
	v_sub_f32_e32 v22, v22, v37
	v_cvt_i32_f32_e32 v33, v33
	v_add_f32_e32 v25, v25, v42
	v_exp_f32_e32 v17, v17
	s_delay_alu instid0(VALU_DEP_3)
	v_dual_cndmask_b32 v15, 0, v15 :: v_dual_add_f32 v22, v22, v36
	v_cvt_i32_f32_e32 v35, v35
	v_ldexp_f32 v16, v16, v33
	v_cmp_ngt_f32_e32 vcc_lo, 0xc2ce8ed0, v19
	v_cvt_i32_f32_e32 v37, v37
	v_exp_f32_e32 v22, v22
	v_exp_f32_e32 v23, v23
	v_fma_f32 v40, 0x3fb8aa3b, v21, -v24
	s_delay_alu instid0(TRANS32_DEP_3)
	v_ldexp_f32 v17, v17, v35
	v_cndmask_b32_e32 v16, 0, v16, vcc_lo
	v_cmp_ngt_f32_e32 vcc_lo, 0xc2ce8ed0, v9
	v_rndne_f32_e32 v41, v24
	v_cvt_i32_f32_e32 v39, v39
	v_exp_f32_e32 v25, v25
	v_cvt_i32_f32_e32 v30, v43
	v_ldexp_f32 v22, v22, v37
	v_cndmask_b32_e32 v17, 0, v17, vcc_lo
	v_cmp_ngt_f32_e32 vcc_lo, 0xc2ce8ed0, v20
	v_sub_f32_e32 v24, v24, v41
	v_ldexp_f32 v23, v23, v39
	v_cvt_i32_f32_e32 v28, v41
	v_cndmask_b32_e32 v22, 0, v22, vcc_lo
	v_cmp_ngt_f32_e32 vcc_lo, 0xc2ce8ed0, v10
	v_fmac_f32_e32 v40, 0x32a5705f, v21
	v_ldexp_f32 v25, v25, v30
	s_delay_alu instid0(VALU_DEP_2) | instskip(SKIP_1) | instid1(VALU_DEP_2)
	v_dual_cndmask_b32 v23, 0, v23 :: v_dual_add_f32 v24, v24, v40
	v_cmp_ngt_f32_e32 vcc_lo, 0xc2ce8ed0, v21
	v_exp_f32_e32 v24, v24
	s_waitcnt_depctr 0xfff
	v_ldexp_f32 v24, v24, v28
	s_delay_alu instid0(VALU_DEP_1)
	v_cndmask_b32_e32 v24, 0, v24, vcc_lo
	v_cmp_ngt_f32_e32 vcc_lo, 0xc2ce8ed0, v11
	v_cndmask_b32_e32 v25, 0, v25, vcc_lo
	v_cmp_nlt_f32_e32 vcc_lo, 0x42b17218, v18
	v_cndmask_b32_e32 v14, 0x7f800000, v14, vcc_lo
	v_cmp_nlt_f32_e32 vcc_lo, 0x42b17218, v8
	;; [unrolled: 2-line block ×3, first 2 shown]
	s_delay_alu instid0(VALU_DEP_2) | instskip(SKIP_4) | instid1(VALU_DEP_3)
	v_dual_fmac_f32 v8, v4, v14 :: v_dual_cndmask_b32 v15, 0x7f800000, v16
	v_cmp_nlt_f32_e32 vcc_lo, 0x42b17218, v9
	v_cvt_f16_f32_e32 v4, v14
	v_cndmask_b32_e32 v9, 0x7f800000, v17, vcc_lo
	v_cmp_nlt_f32_e32 vcc_lo, 0x42b17218, v20
	v_pk_mul_f16 v55, v4, v55 op_sel_hi:[0,1]
	v_pk_mul_f16 v56, v4, v56 op_sel_hi:[0,1]
	s_delay_alu instid0(VALU_DEP_4)
	v_dual_mov_b32 v4, v8 :: v_dual_fmac_f32 v9, v5, v15
	v_cndmask_b32_e32 v16, 0x7f800000, v22, vcc_lo
	v_cmp_nlt_f32_e32 vcc_lo, 0x42b17218, v10
	v_cvt_f16_f32_e32 v5, v15
	v_cndmask_b32_e32 v10, 0x7f800000, v23, vcc_lo
	v_cmp_nlt_f32_e32 vcc_lo, 0x42b17218, v21
	s_delay_alu instid0(VALU_DEP_3) | instskip(SKIP_1) | instid1(VALU_DEP_4)
	v_pk_mul_f16 v53, v5, v53 op_sel_hi:[0,1]
	v_pk_mul_f16 v54, v5, v54 op_sel_hi:[0,1]
	v_dual_mov_b32 v5, v9 :: v_dual_fmac_f32 v10, v6, v16
	v_cndmask_b32_e32 v17, 0x7f800000, v24, vcc_lo
	v_cmp_nlt_f32_e32 vcc_lo, 0x42b17218, v11
	v_cvt_f16_f32_e32 v6, v16
	v_cndmask_b32_e32 v11, 0x7f800000, v25, vcc_lo
	s_delay_alu instid0(VALU_DEP_2) | instskip(SKIP_1) | instid1(VALU_DEP_3)
	v_pk_mul_f16 v51, v6, v51 op_sel_hi:[0,1]
	v_pk_mul_f16 v52, v6, v52 op_sel_hi:[0,1]
	v_dual_mov_b32 v6, v10 :: v_dual_fmac_f32 v11, v7, v17
	v_cvt_f16_f32_e32 v7, v17
	s_delay_alu instid0(VALU_DEP_1) | instskip(SKIP_1) | instid1(VALU_DEP_4)
	v_pk_mul_f16 v50, v7, v50 op_sel_hi:[0,1]
	v_pk_mul_f16 v49, v7, v49 op_sel_hi:[0,1]
	v_mov_b32_e32 v7, v11
	s_mov_b32 s2, exec_lo
	v_cmpx_gt_i32_e64 s26, v12
	s_cbranch_execnz .LBB9_23
.LBB9_21:
	s_nop 0
	s_sendmsg sendmsg(MSG_DEALLOC_VGPRS)
	s_endpgm
.LBB9_22:
	s_delay_alu instid0(VALU_DEP_1) | instskip(NEXT) | instid1(VALU_DEP_3)
	v_dual_mov_b32 v11, v7 :: v_dual_mov_b32 v10, v6
	v_dual_mov_b32 v9, v5 :: v_dual_mov_b32 v8, v4
	s_mov_b32 s2, exec_lo
	v_cmpx_gt_i32_e64 s26, v12
	s_cbranch_execz .LBB9_21
.LBB9_23:
	s_load_b32 s1, s[0:1], 0xd4
	v_mov_b32_e32 v16, 1.0
	s_waitcnt lgkmcnt(0)
	s_cmp_lg_u32 s1, 1
	s_cselect_b32 s3, -1, 0
	s_cmp_eq_u32 s1, 1
	s_cselect_b32 s2, -1, 0
	s_and_b32 vcc_lo, exec_lo, s3
	s_cbranch_vccnz .LBB9_25
; %bb.24:
	v_div_scale_f32 v14, null, v4, v4, 1.0
	s_delay_alu instid0(VALU_DEP_1) | instskip(SKIP_2) | instid1(VALU_DEP_1)
	v_rcp_f32_e32 v15, v14
	s_waitcnt_depctr 0xfff
	v_fma_f32 v16, -v14, v15, 1.0
	v_fmac_f32_e32 v15, v16, v15
	v_div_scale_f32 v16, vcc_lo, 1.0, v4, 1.0
	s_delay_alu instid0(VALU_DEP_1) | instskip(NEXT) | instid1(VALU_DEP_1)
	v_mul_f32_e32 v17, v16, v15
	v_fma_f32 v18, -v14, v17, v16
	s_delay_alu instid0(VALU_DEP_1) | instskip(NEXT) | instid1(VALU_DEP_1)
	v_fmac_f32_e32 v17, v18, v15
	v_fma_f32 v14, -v14, v17, v16
	s_delay_alu instid0(VALU_DEP_1) | instskip(NEXT) | instid1(VALU_DEP_1)
	v_div_fmas_f32 v14, v14, v15, v17
	v_div_fixup_f32 v16, v14, v4, 1.0
.LBB9_25:
	v_mad_u64_u32 v[14:15], null, s33, s26, v[12:13]
	v_cmp_eq_u32_e32 vcc_lo, 0, v13
	v_cvt_f32_f16_e32 v18, v56
	v_cvt_f32_f16_e32 v17, v55
	s_delay_alu instid0(VALU_DEP_2) | instskip(SKIP_1) | instid1(VALU_DEP_3)
	v_mul_f32_e32 v19, v16, v18
	v_mul_lo_u32 v4, v14, s27
	v_mul_f32_e32 v17, v16, v17
	s_delay_alu instid0(VALU_DEP_2) | instskip(NEXT) | instid1(VALU_DEP_1)
	v_add3_u32 v4, s52, v26, v4
	v_mad_u64_u32 v[14:15], null, s1, v4, s[14:15]
	v_lshrrev_b32_e32 v4, 16, v55
	v_lshrrev_b32_e32 v15, 16, v56
	s_delay_alu instid0(VALU_DEP_2) | instskip(SKIP_2) | instid1(VALU_DEP_4)
	v_cvt_f32_f16_e32 v4, v4
	v_mov_b32_e32 v13, 0
	v_lshl_add_u32 v12, v14, 7, v27
	v_cvt_f32_f16_e32 v15, v15
	s_delay_alu instid0(VALU_DEP_4) | instskip(NEXT) | instid1(VALU_DEP_3)
	v_mul_f32_e32 v18, v16, v4
	v_lshlrev_b64 v[12:13], 2, v[12:13]
	s_delay_alu instid0(VALU_DEP_3) | instskip(NEXT) | instid1(VALU_DEP_2)
	v_mul_f32_e32 v20, v16, v15
	v_add_co_u32 v12, s0, s48, v12
	s_delay_alu instid0(VALU_DEP_1)
	v_add_co_ci_u32_e64 v13, s0, s49, v13, s0
	s_and_b32 s0, vcc_lo, s3
	global_store_b128 v[12:13], v[17:20], off
	s_and_saveexec_b32 s3, s0
	s_cbranch_execz .LBB9_27
; %bb.26:
	v_ashrrev_i32_e32 v15, 31, v14
	v_mov_b32_e32 v16, v8
	s_delay_alu instid0(VALU_DEP_2) | instskip(SKIP_1) | instid1(VALU_DEP_2)
	v_lshlrev_b64 v[12:13], 3, v[14:15]
	v_mov_b32_e32 v15, v0
	v_add_co_u32 v12, vcc_lo, s50, v12
	s_delay_alu instid0(VALU_DEP_3)
	v_add_co_ci_u32_e32 v13, vcc_lo, s51, v13, vcc_lo
	global_store_b64 v[12:13], v[15:16], off
.LBB9_27:
	s_or_b32 exec_lo, exec_lo, s3
	v_cndmask_b32_e64 v12, 0, 1, s2
	v_mov_b32_e32 v0, 1.0
	s_and_not1_b32 vcc_lo, exec_lo, s2
	s_cbranch_vccnz .LBB9_29
; %bb.28:
	v_div_scale_f32 v0, null, v5, v5, 1.0
	s_delay_alu instid0(VALU_DEP_1) | instskip(SKIP_2) | instid1(VALU_DEP_1)
	v_rcp_f32_e32 v4, v0
	s_waitcnt_depctr 0xfff
	v_fma_f32 v8, -v0, v4, 1.0
	v_fmac_f32_e32 v4, v8, v4
	v_div_scale_f32 v8, vcc_lo, 1.0, v5, 1.0
	s_delay_alu instid0(VALU_DEP_1) | instskip(NEXT) | instid1(VALU_DEP_1)
	v_mul_f32_e32 v13, v8, v4
	v_fma_f32 v15, -v0, v13, v8
	s_delay_alu instid0(VALU_DEP_1) | instskip(NEXT) | instid1(VALU_DEP_1)
	v_fmac_f32_e32 v13, v15, v4
	v_fma_f32 v0, -v0, v13, v8
	s_delay_alu instid0(VALU_DEP_1) | instskip(NEXT) | instid1(VALU_DEP_1)
	v_div_fmas_f32 v0, v0, v4, v13
	v_div_fixup_f32 v0, v0, v5, 1.0
.LBB9_29:
	v_cvt_f32_f16_e32 v15, v53
	v_add_nc_u32_e32 v4, s1, v14
	v_cvt_f32_f16_e32 v16, v54
	v_mov_b32_e32 v14, 0
	v_lshrrev_b32_e32 v5, 16, v53
	v_lshrrev_b32_e32 v8, 16, v54
	v_lshl_add_u32 v13, v4, 7, v27
	s_delay_alu instid0(VALU_DEP_3) | instskip(NEXT) | instid1(VALU_DEP_3)
	v_cvt_f32_f16_e32 v5, v5
	v_cvt_f32_f16_e32 v8, v8
	s_delay_alu instid0(VALU_DEP_3)
	v_lshlrev_b64 v[17:18], 2, v[13:14]
	v_mul_f32_e32 v13, v0, v15
	v_mul_f32_e32 v15, v0, v16
	;; [unrolled: 1-line block ×4, first 2 shown]
	v_add_co_u32 v17, vcc_lo, s48, v17
	v_add_co_ci_u32_e32 v18, vcc_lo, s49, v18, vcc_lo
	global_store_b128 v[17:18], v[13:16], off
	s_and_saveexec_b32 s2, s0
	s_cbranch_execz .LBB9_31
; %bb.30:
	v_ashrrev_i32_e32 v5, 31, v4
	v_mov_b32_e32 v8, v1
	s_delay_alu instid0(VALU_DEP_2) | instskip(NEXT) | instid1(VALU_DEP_1)
	v_lshlrev_b64 v[13:14], 3, v[4:5]
	v_add_co_u32 v13, vcc_lo, s50, v13
	s_delay_alu instid0(VALU_DEP_2)
	v_add_co_ci_u32_e32 v14, vcc_lo, s51, v14, vcc_lo
	global_store_b64 v[13:14], v[8:9], off
.LBB9_31:
	s_or_b32 exec_lo, exec_lo, s2
	v_cmp_ne_u32_e32 vcc_lo, 1, v12
	v_mov_b32_e32 v1, 1.0
	s_cbranch_vccnz .LBB9_33
; %bb.32:
	v_div_scale_f32 v0, null, v6, v6, 1.0
	s_delay_alu instid0(VALU_DEP_1) | instskip(SKIP_2) | instid1(VALU_DEP_1)
	v_rcp_f32_e32 v1, v0
	s_waitcnt_depctr 0xfff
	v_fma_f32 v5, -v0, v1, 1.0
	v_fmac_f32_e32 v1, v5, v1
	v_div_scale_f32 v5, vcc_lo, 1.0, v6, 1.0
	s_delay_alu instid0(VALU_DEP_1) | instskip(NEXT) | instid1(VALU_DEP_1)
	v_mul_f32_e32 v8, v5, v1
	v_fma_f32 v9, -v0, v8, v5
	s_delay_alu instid0(VALU_DEP_1) | instskip(NEXT) | instid1(VALU_DEP_1)
	v_fmac_f32_e32 v8, v9, v1
	v_fma_f32 v0, -v0, v8, v5
	s_delay_alu instid0(VALU_DEP_1) | instskip(NEXT) | instid1(VALU_DEP_1)
	v_div_fmas_f32 v0, v0, v1, v8
	v_div_fixup_f32 v1, v0, v6, 1.0
.LBB9_33:
	v_dual_mov_b32 v5, 0 :: v_dual_add_nc_u32 v0, s1, v4
	v_lshrrev_b32_e32 v6, 16, v51
	v_lshrrev_b32_e32 v8, 16, v52
	v_cvt_f32_f16_e32 v9, v51
	s_delay_alu instid0(VALU_DEP_4)
	v_lshl_add_u32 v4, v0, 7, v27
	v_cvt_f32_f16_e32 v14, v52
	v_cvt_f32_f16_e32 v6, v6
	;; [unrolled: 1-line block ×3, first 2 shown]
	v_mul_f32_e32 v13, v1, v9
	v_lshlrev_b64 v[4:5], 2, v[4:5]
	v_mul_f32_e32 v15, v1, v14
	v_mul_f32_e32 v14, v1, v6
	;; [unrolled: 1-line block ×3, first 2 shown]
	s_delay_alu instid0(VALU_DEP_4)
	v_add_co_u32 v4, vcc_lo, s48, v4
	v_add_co_ci_u32_e32 v5, vcc_lo, s49, v5, vcc_lo
	global_store_b128 v[4:5], v[13:16], off
	s_and_saveexec_b32 s2, s0
	s_cbranch_execz .LBB9_35
; %bb.34:
	v_ashrrev_i32_e32 v1, 31, v0
	v_mov_b32_e32 v9, v2
	s_delay_alu instid0(VALU_DEP_2) | instskip(NEXT) | instid1(VALU_DEP_1)
	v_lshlrev_b64 v[4:5], 3, v[0:1]
	v_add_co_u32 v4, vcc_lo, s50, v4
	s_delay_alu instid0(VALU_DEP_2)
	v_add_co_ci_u32_e32 v5, vcc_lo, s51, v5, vcc_lo
	global_store_b64 v[4:5], v[9:10], off
.LBB9_35:
	s_or_b32 exec_lo, exec_lo, s2
	v_cmp_ne_u32_e32 vcc_lo, 1, v12
	v_mov_b32_e32 v1, 1.0
	s_cbranch_vccnz .LBB9_37
; %bb.36:
	v_div_scale_f32 v1, null, v7, v7, 1.0
	s_delay_alu instid0(VALU_DEP_1) | instskip(SKIP_2) | instid1(VALU_DEP_1)
	v_rcp_f32_e32 v2, v1
	s_waitcnt_depctr 0xfff
	v_fma_f32 v4, -v1, v2, 1.0
	v_fmac_f32_e32 v2, v4, v2
	v_div_scale_f32 v4, vcc_lo, 1.0, v7, 1.0
	s_delay_alu instid0(VALU_DEP_1) | instskip(NEXT) | instid1(VALU_DEP_1)
	v_mul_f32_e32 v5, v4, v2
	v_fma_f32 v6, -v1, v5, v4
	s_delay_alu instid0(VALU_DEP_1) | instskip(NEXT) | instid1(VALU_DEP_1)
	v_fmac_f32_e32 v5, v6, v2
	v_fma_f32 v1, -v1, v5, v4
	s_delay_alu instid0(VALU_DEP_1) | instskip(NEXT) | instid1(VALU_DEP_1)
	v_div_fmas_f32 v1, v1, v2, v5
	v_div_fixup_f32 v1, v1, v7, 1.0
.LBB9_37:
	v_dual_mov_b32 v5, 0 :: v_dual_add_nc_u32 v0, s1, v0
	v_lshrrev_b32_e32 v2, 16, v50
	v_lshrrev_b32_e32 v6, 16, v49
	v_cvt_f32_f16_e32 v7, v50
	s_delay_alu instid0(VALU_DEP_4) | instskip(SKIP_3) | instid1(VALU_DEP_4)
	v_lshl_add_u32 v4, v0, 7, v27
	v_cvt_f32_f16_e32 v10, v49
	v_cvt_f32_f16_e32 v2, v2
	;; [unrolled: 1-line block ×3, first 2 shown]
	v_lshlrev_b64 v[8:9], 2, v[4:5]
	v_mul_f32_e32 v4, v1, v7
	v_mul_f32_e32 v6, v1, v10
	;; [unrolled: 1-line block ×4, first 2 shown]
	v_add_co_u32 v1, vcc_lo, s48, v8
	v_add_co_ci_u32_e32 v2, vcc_lo, s49, v9, vcc_lo
	global_store_b128 v[1:2], v[4:7], off
	s_and_b32 exec_lo, exec_lo, s0
	s_cbranch_execz .LBB9_21
; %bb.38:
	v_ashrrev_i32_e32 v1, 31, v0
	v_mov_b32_e32 v10, v3
	s_delay_alu instid0(VALU_DEP_2) | instskip(NEXT) | instid1(VALU_DEP_1)
	v_lshlrev_b64 v[0:1], 3, v[0:1]
	v_add_co_u32 v0, vcc_lo, s50, v0
	s_delay_alu instid0(VALU_DEP_2)
	v_add_co_ci_u32_e32 v1, vcc_lo, s51, v1, vcc_lo
	global_store_b64 v[0:1], v[10:11], off
	s_nop 0
	s_sendmsg sendmsg(MSG_DEALLOC_VGPRS)
	s_endpgm
	.section	.rodata,"a",@progbits
	.p2align	6, 0x0
	.amdhsa_kernel _ZL15flash_attn_tileILi192ELi128ELi4ELi8ELb0EEvPKcS1_S1_S1_S1_PKiPfP15HIP_vector_typeIfLj2EEffffjfiS5_IjLj3EEiiiiiiiiiiiliiliiiiil
		.amdhsa_group_segment_fixed_size 25600
		.amdhsa_private_segment_fixed_size 0
		.amdhsa_kernarg_size 464
		.amdhsa_user_sgpr_count 13
		.amdhsa_user_sgpr_dispatch_ptr 0
		.amdhsa_user_sgpr_queue_ptr 0
		.amdhsa_user_sgpr_kernarg_segment_ptr 1
		.amdhsa_user_sgpr_dispatch_id 0
		.amdhsa_user_sgpr_private_segment_size 0
		.amdhsa_wavefront_size32 1
		.amdhsa_uses_dynamic_stack 0
		.amdhsa_enable_private_segment 0
		.amdhsa_system_sgpr_workgroup_id_x 1
		.amdhsa_system_sgpr_workgroup_id_y 1
		.amdhsa_system_sgpr_workgroup_id_z 1
		.amdhsa_system_sgpr_workgroup_info 0
		.amdhsa_system_vgpr_workitem_id 1
		.amdhsa_next_free_vgpr 138
		.amdhsa_next_free_sgpr 53
		.amdhsa_reserve_vcc 1
		.amdhsa_float_round_mode_32 0
		.amdhsa_float_round_mode_16_64 0
		.amdhsa_float_denorm_mode_32 3
		.amdhsa_float_denorm_mode_16_64 3
		.amdhsa_dx10_clamp 1
		.amdhsa_ieee_mode 1
		.amdhsa_fp16_overflow 0
		.amdhsa_workgroup_processor_mode 1
		.amdhsa_memory_ordered 1
		.amdhsa_forward_progress 0
		.amdhsa_shared_vgpr_count 0
		.amdhsa_exception_fp_ieee_invalid_op 0
		.amdhsa_exception_fp_denorm_src 0
		.amdhsa_exception_fp_ieee_div_zero 0
		.amdhsa_exception_fp_ieee_overflow 0
		.amdhsa_exception_fp_ieee_underflow 0
		.amdhsa_exception_fp_ieee_inexact 0
		.amdhsa_exception_int_div_zero 0
	.end_amdhsa_kernel
	.section	.text._ZL15flash_attn_tileILi192ELi128ELi4ELi8ELb0EEvPKcS1_S1_S1_S1_PKiPfP15HIP_vector_typeIfLj2EEffffjfiS5_IjLj3EEiiiiiiiiiiiliiliiiiil,"axG",@progbits,_ZL15flash_attn_tileILi192ELi128ELi4ELi8ELb0EEvPKcS1_S1_S1_S1_PKiPfP15HIP_vector_typeIfLj2EEffffjfiS5_IjLj3EEiiiiiiiiiiiliiliiiiil,comdat
.Lfunc_end9:
	.size	_ZL15flash_attn_tileILi192ELi128ELi4ELi8ELb0EEvPKcS1_S1_S1_S1_PKiPfP15HIP_vector_typeIfLj2EEffffjfiS5_IjLj3EEiiiiiiiiiiiliiliiiiil, .Lfunc_end9-_ZL15flash_attn_tileILi192ELi128ELi4ELi8ELb0EEvPKcS1_S1_S1_S1_PKiPfP15HIP_vector_typeIfLj2EEffffjfiS5_IjLj3EEiiiiiiiiiiiliiliiiiil
                                        ; -- End function
	.section	.AMDGPU.csdata,"",@progbits
; Kernel info:
; codeLenInByte = 29532
; NumSgprs: 55
; NumVgprs: 138
; ScratchSize: 0
; MemoryBound: 0
; FloatMode: 240
; IeeeMode: 1
; LDSByteSize: 25600 bytes/workgroup (compile time only)
; SGPRBlocks: 6
; VGPRBlocks: 17
; NumSGPRsForWavesPerEU: 55
; NumVGPRsForWavesPerEU: 138
; Occupancy: 10
; WaveLimiterHint : 1
; COMPUTE_PGM_RSRC2:SCRATCH_EN: 0
; COMPUTE_PGM_RSRC2:USER_SGPR: 13
; COMPUTE_PGM_RSRC2:TRAP_HANDLER: 0
; COMPUTE_PGM_RSRC2:TGID_X_EN: 1
; COMPUTE_PGM_RSRC2:TGID_Y_EN: 1
; COMPUTE_PGM_RSRC2:TGID_Z_EN: 1
; COMPUTE_PGM_RSRC2:TIDIG_COMP_CNT: 1
	.section	.text._ZL25flash_attn_mask_to_KV_maxILi4EEvPK7__half2Piiii,"axG",@progbits,_ZL25flash_attn_mask_to_KV_maxILi4EEvPK7__half2Piiii,comdat
	.globl	_ZL25flash_attn_mask_to_KV_maxILi4EEvPK7__half2Piiii ; -- Begin function _ZL25flash_attn_mask_to_KV_maxILi4EEvPK7__half2Piiii
	.p2align	8
	.type	_ZL25flash_attn_mask_to_KV_maxILi4EEvPK7__half2Piiii,@function
_ZL25flash_attn_mask_to_KV_maxILi4EEvPK7__half2Piiii: ; @_ZL25flash_attn_mask_to_KV_maxILi4EEvPK7__half2Piiii
; %bb.0:
	s_load_b128 s[4:7], s[0:1], 0x0
	s_mov_b32 s2, exec_lo
	v_cmpx_gt_u32_e32 32, v0
	s_cbranch_execz .LBB10_2
; %bb.1:
	v_dual_mov_b32 v2, 1 :: v_dual_lshlrev_b32 v1, 2, v0
	ds_store_b32 v1, v2
.LBB10_2:
	s_or_b32 exec_lo, exec_lo, s2
	s_clause 0x1
	s_load_b128 s[8:11], s[0:1], 0x10
	s_load_b32 s1, s[0:1], 0x20
	v_dual_mov_b32 v2, 0 :: v_dual_and_b32 v1, 31, v0
	v_lshrrev_b32_e32 v5, 3, v0
	s_waitcnt lgkmcnt(0)
	s_barrier
	s_delay_alu instid0(VALU_DEP_2) | instskip(SKIP_4) | instid1(SALU_CYCLE_1)
	v_lshlrev_b32_e32 v6, 2, v1
	buffer_gl0_inv
	s_mul_i32 s0, s14, s9
	s_mul_i32 s2, s15, s10
	s_lshl_b32 s0, s0, 2
	s_add_i32 s2, s2, s0
	v_cmp_eq_u32_e64 s0, 0, v1
	s_ashr_i32 s3, s2, 31
	s_delay_alu instid0(SALU_CYCLE_1) | instskip(NEXT) | instid1(SALU_CYCLE_1)
	s_lshl_b64 s[10:11], s[2:3], 2
	s_add_u32 s3, s4, s10
	s_addc_u32 s4, s5, s11
	s_lshl_b32 s5, s8, 8
	s_branch .LBB10_4
.LBB10_3:                               ;   in Loop: Header=BB10_4 Depth=1
	s_or_b32 exec_lo, exec_lo, s10
	s_waitcnt lgkmcnt(0)
	s_barrier
	buffer_gl0_inv
	ds_load_b32 v1, v6
	s_waitcnt lgkmcnt(0)
	s_barrier
	buffer_gl0_inv
	;;#ASMSTART
	;;#ASMEND
	v_cmp_ne_u32_e32 vcc_lo, 0, v1
	s_cmp_lg_u32 vcc_lo, exec_lo
	s_cselect_b32 s8, -1, 0
	s_delay_alu instid0(SALU_CYCLE_1)
	s_and_b32 vcc_lo, exec_lo, s8
	s_cbranch_vccnz .LBB10_20
.LBB10_4:                               ; =>This Inner Loop Header: Depth=1
	s_mov_b32 s2, s5
	s_addk_i32 s5, 0xff00
	s_delay_alu instid0(SALU_CYCLE_1)
	s_cmp_lt_i32 s5, 0
	s_cbranch_scc1 .LBB10_19
; %bb.5:                                ;   in Loop: Header=BB10_4 Depth=1
	s_lshr_b32 s8, s5, 1
	s_mov_b32 s10, 0
	v_add_nc_u32_e32 v1, s8, v0
	s_delay_alu instid0(VALU_DEP_1) | instskip(NEXT) | instid1(VALU_DEP_1)
	v_lshlrev_b64 v[3:4], 2, v[1:2]
	v_add_co_u32 v3, vcc_lo, s3, v3
	s_delay_alu instid0(VALU_DEP_2) | instskip(SKIP_4) | instid1(VALU_DEP_2)
	v_add_co_ci_u32_e32 v4, vcc_lo, s4, v4, vcc_lo
	global_load_b32 v3, v[3:4], off
	s_waitcnt vmcnt(0)
	v_lshrrev_b32_e32 v4, 16, v3
	v_cmp_class_f16_e64 s8, v3, 0x204
	v_and_b32_e32 v4, 0x7fff, v4
	s_delay_alu instid0(VALU_DEP_1) | instskip(NEXT) | instid1(VALU_DEP_3)
	v_cmp_eq_f16_e32 vcc_lo, 0x7c00, v4
	s_and_b32 s11, s8, vcc_lo
	s_delay_alu instid0(SALU_CYCLE_1)
	s_and_saveexec_b32 s8, s11
	s_cbranch_execz .LBB10_17
; %bb.6:                                ;   in Loop: Header=BB10_4 Depth=1
	v_add_nc_u32_e32 v3, s9, v1
	s_mov_b32 s11, 0
	s_delay_alu instid0(VALU_DEP_1) | instskip(NEXT) | instid1(VALU_DEP_1)
	v_ashrrev_i32_e32 v4, 31, v3
	v_lshlrev_b64 v[7:8], 2, v[3:4]
	s_delay_alu instid0(VALU_DEP_1) | instskip(NEXT) | instid1(VALU_DEP_2)
	v_add_co_u32 v7, vcc_lo, s3, v7
	v_add_co_ci_u32_e32 v8, vcc_lo, s4, v8, vcc_lo
	global_load_b32 v1, v[7:8], off
	s_waitcnt vmcnt(0)
	v_cmp_class_f16_e64 s12, v1, 0x204
	s_delay_alu instid0(VALU_DEP_1)
	s_and_saveexec_b32 s10, s12
	s_cbranch_execz .LBB10_16
; %bb.7:                                ;   in Loop: Header=BB10_4 Depth=1
	v_lshrrev_b32_e32 v1, 16, v1
	s_mov_b32 s12, 0
	s_delay_alu instid0(VALU_DEP_1) | instskip(NEXT) | instid1(VALU_DEP_1)
	v_cmp_class_f16_e64 s13, v1, 0x204
	s_and_saveexec_b32 s11, s13
	s_cbranch_execz .LBB10_15
; %bb.8:                                ;   in Loop: Header=BB10_4 Depth=1
	v_add_nc_u32_e32 v3, s9, v3
	s_mov_b32 s13, 0
	s_delay_alu instid0(VALU_DEP_1) | instskip(NEXT) | instid1(VALU_DEP_1)
	v_ashrrev_i32_e32 v4, 31, v3
	v_lshlrev_b64 v[7:8], 2, v[3:4]
	s_delay_alu instid0(VALU_DEP_1) | instskip(NEXT) | instid1(VALU_DEP_2)
	v_add_co_u32 v7, vcc_lo, s3, v7
	v_add_co_ci_u32_e32 v8, vcc_lo, s4, v8, vcc_lo
	global_load_b32 v1, v[7:8], off
	s_waitcnt vmcnt(0)
	v_cmp_class_f16_e64 s16, v1, 0x204
	s_delay_alu instid0(VALU_DEP_1)
	s_and_saveexec_b32 s12, s16
	s_cbranch_execz .LBB10_14
; %bb.9:                                ;   in Loop: Header=BB10_4 Depth=1
	v_lshrrev_b32_e32 v1, 16, v1
	s_mov_b32 s16, 0
	s_delay_alu instid0(VALU_DEP_1) | instskip(NEXT) | instid1(VALU_DEP_1)
	v_cmp_class_f16_e64 s17, v1, 0x204
	s_and_saveexec_b32 s13, s17
	s_cbranch_execz .LBB10_13
; %bb.10:                               ;   in Loop: Header=BB10_4 Depth=1
	v_add_nc_u32_e32 v3, s9, v3
	s_delay_alu instid0(VALU_DEP_1) | instskip(NEXT) | instid1(VALU_DEP_1)
	v_ashrrev_i32_e32 v4, 31, v3
	v_lshlrev_b64 v[3:4], 2, v[3:4]
	s_delay_alu instid0(VALU_DEP_1) | instskip(NEXT) | instid1(VALU_DEP_2)
	v_add_co_u32 v3, vcc_lo, s3, v3
	v_add_co_ci_u32_e32 v4, vcc_lo, s4, v4, vcc_lo
	global_load_b32 v1, v[3:4], off
	s_waitcnt vmcnt(0)
	v_cmp_class_f16_e64 s18, v1, 0x204
	s_delay_alu instid0(VALU_DEP_1)
	s_and_saveexec_b32 s17, s18
; %bb.11:                               ;   in Loop: Header=BB10_4 Depth=1
	v_lshrrev_b32_e32 v1, 16, v1
	s_delay_alu instid0(VALU_DEP_1) | instskip(NEXT) | instid1(VALU_DEP_1)
	v_cmp_class_f16_e64 s16, v1, 0x204
	s_and_b32 s16, s16, exec_lo
; %bb.12:                               ;   in Loop: Header=BB10_4 Depth=1
	s_or_b32 exec_lo, exec_lo, s17
	s_delay_alu instid0(SALU_CYCLE_1)
	s_and_b32 s16, s16, exec_lo
.LBB10_13:                              ;   in Loop: Header=BB10_4 Depth=1
	s_or_b32 exec_lo, exec_lo, s13
	s_delay_alu instid0(SALU_CYCLE_1)
	s_and_b32 s13, s16, exec_lo
.LBB10_14:                              ;   in Loop: Header=BB10_4 Depth=1
	s_or_b32 exec_lo, exec_lo, s12
	s_delay_alu instid0(SALU_CYCLE_1)
	s_and_b32 s12, s13, exec_lo
.LBB10_15:                              ;   in Loop: Header=BB10_4 Depth=1
	s_or_b32 exec_lo, exec_lo, s11
	s_delay_alu instid0(SALU_CYCLE_1)
	s_and_b32 s11, s12, exec_lo
.LBB10_16:                              ;   in Loop: Header=BB10_4 Depth=1
	s_or_b32 exec_lo, exec_lo, s10
	s_delay_alu instid0(SALU_CYCLE_1)
	s_and_b32 s10, s11, exec_lo
.LBB10_17:                              ;   in Loop: Header=BB10_4 Depth=1
	s_or_b32 exec_lo, exec_lo, s8
	v_cndmask_b32_e64 v1, 0, 1, s10
	;;#ASMSTART
	;;#ASMEND
	s_delay_alu instid0(VALU_DEP_1)
	v_cmp_ne_u32_e32 vcc_lo, 0, v1
	s_mov_b32 s8, exec_lo
	s_and_saveexec_b32 s10, s0
	s_cbranch_execz .LBB10_3
; %bb.18:                               ;   in Loop: Header=BB10_4 Depth=1
	s_cmp_eq_u32 vcc_lo, s8
	s_cselect_b32 s8, -1, 0
	s_delay_alu instid0(SALU_CYCLE_1)
	v_cndmask_b32_e64 v1, 0, 1, s8
	ds_store_b32 v5, v1
	s_branch .LBB10_3
.LBB10_19:                              ;   in Loop: Header=BB10_4 Depth=1
                                        ; implicit-def: $sgpr5
	s_cbranch_execz .LBB10_4
.LBB10_20:
	s_mov_b32 s0, exec_lo
	v_cmpx_eq_u32_e32 0, v0
	s_cbranch_execz .LBB10_22
; %bb.21:
	s_mul_i32 s0, s1, s15
	v_dual_mov_b32 v0, 0 :: v_dual_mov_b32 v1, s2
	s_add_i32 s0, s0, s14
	s_delay_alu instid0(SALU_CYCLE_1) | instskip(NEXT) | instid1(SALU_CYCLE_1)
	s_ashr_i32 s1, s0, 31
	s_lshl_b64 s[0:1], s[0:1], 2
	s_delay_alu instid0(SALU_CYCLE_1)
	s_add_u32 s0, s6, s0
	s_addc_u32 s1, s7, s1
	global_store_b32 v0, v1, s[0:1]
.LBB10_22:
	s_nop 0
	s_sendmsg sendmsg(MSG_DEALLOC_VGPRS)
	s_endpgm
	.section	.rodata,"a",@progbits
	.p2align	6, 0x0
	.amdhsa_kernel _ZL25flash_attn_mask_to_KV_maxILi4EEvPK7__half2Piiii
		.amdhsa_group_segment_fixed_size 128
		.amdhsa_private_segment_fixed_size 0
		.amdhsa_kernarg_size 288
		.amdhsa_user_sgpr_count 14
		.amdhsa_user_sgpr_dispatch_ptr 0
		.amdhsa_user_sgpr_queue_ptr 0
		.amdhsa_user_sgpr_kernarg_segment_ptr 1
		.amdhsa_user_sgpr_dispatch_id 0
		.amdhsa_user_sgpr_private_segment_size 0
		.amdhsa_wavefront_size32 1
		.amdhsa_uses_dynamic_stack 0
		.amdhsa_enable_private_segment 0
		.amdhsa_system_sgpr_workgroup_id_x 1
		.amdhsa_system_sgpr_workgroup_id_y 1
		.amdhsa_system_sgpr_workgroup_id_z 0
		.amdhsa_system_sgpr_workgroup_info 0
		.amdhsa_system_vgpr_workitem_id 0
		.amdhsa_next_free_vgpr 9
		.amdhsa_next_free_sgpr 19
		.amdhsa_reserve_vcc 1
		.amdhsa_float_round_mode_32 0
		.amdhsa_float_round_mode_16_64 0
		.amdhsa_float_denorm_mode_32 3
		.amdhsa_float_denorm_mode_16_64 3
		.amdhsa_dx10_clamp 1
		.amdhsa_ieee_mode 1
		.amdhsa_fp16_overflow 0
		.amdhsa_workgroup_processor_mode 1
		.amdhsa_memory_ordered 1
		.amdhsa_forward_progress 0
		.amdhsa_shared_vgpr_count 0
		.amdhsa_exception_fp_ieee_invalid_op 0
		.amdhsa_exception_fp_denorm_src 0
		.amdhsa_exception_fp_ieee_div_zero 0
		.amdhsa_exception_fp_ieee_overflow 0
		.amdhsa_exception_fp_ieee_underflow 0
		.amdhsa_exception_fp_ieee_inexact 0
		.amdhsa_exception_int_div_zero 0
	.end_amdhsa_kernel
	.section	.text._ZL25flash_attn_mask_to_KV_maxILi4EEvPK7__half2Piiii,"axG",@progbits,_ZL25flash_attn_mask_to_KV_maxILi4EEvPK7__half2Piiii,comdat
.Lfunc_end10:
	.size	_ZL25flash_attn_mask_to_KV_maxILi4EEvPK7__half2Piiii, .Lfunc_end10-_ZL25flash_attn_mask_to_KV_maxILi4EEvPK7__half2Piiii
                                        ; -- End function
	.section	.AMDGPU.csdata,"",@progbits
; Kernel info:
; codeLenInByte = 848
; NumSgprs: 21
; NumVgprs: 9
; ScratchSize: 0
; MemoryBound: 0
; FloatMode: 240
; IeeeMode: 1
; LDSByteSize: 128 bytes/workgroup (compile time only)
; SGPRBlocks: 2
; VGPRBlocks: 1
; NumSGPRsForWavesPerEU: 21
; NumVGPRsForWavesPerEU: 9
; Occupancy: 16
; WaveLimiterHint : 0
; COMPUTE_PGM_RSRC2:SCRATCH_EN: 0
; COMPUTE_PGM_RSRC2:USER_SGPR: 14
; COMPUTE_PGM_RSRC2:TRAP_HANDLER: 0
; COMPUTE_PGM_RSRC2:TGID_X_EN: 1
; COMPUTE_PGM_RSRC2:TGID_Y_EN: 1
; COMPUTE_PGM_RSRC2:TGID_Z_EN: 0
; COMPUTE_PGM_RSRC2:TIDIG_COMP_CNT: 0
	.section	.text._ZL33flash_attn_stream_k_fixup_uniformILi128ELi4ELi8EEvPfPK15HIP_vector_typeIfLj2EEiiiiiiS1_IjLj3EES5_S5_,"axG",@progbits,_ZL33flash_attn_stream_k_fixup_uniformILi128ELi4ELi8EEvPfPK15HIP_vector_typeIfLj2EEiiiiiiS1_IjLj3EES5_S5_,comdat
	.globl	_ZL33flash_attn_stream_k_fixup_uniformILi128ELi4ELi8EEvPfPK15HIP_vector_typeIfLj2EEiiiiiiS1_IjLj3EES5_S5_ ; -- Begin function _ZL33flash_attn_stream_k_fixup_uniformILi128ELi4ELi8EEvPfPK15HIP_vector_typeIfLj2EEiiiiiiS1_IjLj3EES5_S5_
	.p2align	8
	.type	_ZL33flash_attn_stream_k_fixup_uniformILi128ELi4ELi8EEvPfPK15HIP_vector_typeIfLj2EEiiiiiiS1_IjLj3EES5_S5_,@function
_ZL33flash_attn_stream_k_fixup_uniformILi128ELi4ELi8EEvPfPK15HIP_vector_typeIfLj2EEiiiiiiS1_IjLj3EES5_S5_: ; @_ZL33flash_attn_stream_k_fixup_uniformILi128ELi4ELi8EEvPfPK15HIP_vector_typeIfLj2EEiiiiiiS1_IjLj3EES5_S5_
; %bb.0:
	s_clause 0x1
	s_load_b256 s[4:11], s[0:1], 0x1c
	s_load_b128 s[16:19], s[0:1], 0x3c
	s_waitcnt lgkmcnt(0)
	s_mul_hi_u32 s2, s7, s13
	s_delay_alu instid0(SALU_CYCLE_1) | instskip(NEXT) | instid1(SALU_CYCLE_1)
	s_add_i32 s2, s13, s2
	s_lshr_b32 s2, s2, s8
	s_delay_alu instid0(SALU_CYCLE_1) | instskip(SKIP_2) | instid1(SALU_CYCLE_1)
	s_mul_i32 s3, s2, s9
	s_load_b64 s[8:9], s[0:1], 0x10
	s_sub_i32 s7, s13, s3
	s_mul_hi_u32 s3, s7, s10
	s_delay_alu instid0(SALU_CYCLE_1) | instskip(NEXT) | instid1(SALU_CYCLE_1)
	s_add_i32 s3, s7, s3
	s_lshr_b32 s3, s3, s11
	s_delay_alu instid0(SALU_CYCLE_1) | instskip(NEXT) | instid1(SALU_CYCLE_1)
	s_mul_i32 s10, s3, s16
	s_sub_i32 s7, s7, s10
	s_delay_alu instid0(SALU_CYCLE_1) | instskip(NEXT) | instid1(SALU_CYCLE_1)
	s_mul_hi_u32 s10, s7, s17
	s_add_i32 s10, s7, s10
	s_delay_alu instid0(SALU_CYCLE_1) | instskip(NEXT) | instid1(SALU_CYCLE_1)
	s_lshr_b32 s10, s10, s18
	s_mul_i32 s11, s10, s19
	s_lshl_b32 s10, s10, 3
	s_sub_i32 s7, s7, s11
	s_delay_alu instid0(SALU_CYCLE_1) | instskip(NEXT) | instid1(SALU_CYCLE_1)
	s_lshl_b32 s11, s7, 2
	s_add_i32 s11, s11, s14
	s_waitcnt lgkmcnt(0)
	s_cmp_lt_i32 s11, s8
	s_cselect_b32 s11, -1, 0
	s_add_i32 s12, s10, s15
	s_delay_alu instid0(SALU_CYCLE_1) | instskip(SKIP_1) | instid1(SALU_CYCLE_1)
	s_cmp_lt_i32 s12, s5
	s_cselect_b32 s12, -1, 0
	s_and_b32 s11, s11, s12
	s_delay_alu instid0(SALU_CYCLE_1)
	s_and_not1_b32 vcc_lo, exec_lo, s11
	s_cbranch_vccnz .LBB11_6
; %bb.1:
	s_mul_i32 s2, s2, s8
	s_mul_i32 s5, s3, s5
	s_add_i32 s2, s2, s14
	s_mul_i32 s7, s9, s7
	s_mul_i32 s2, s2, s9
	s_lshl_b32 s7, s7, 9
	s_add_i32 s8, s2, s15
	s_load_b128 s[0:3], s[0:1], 0x0
	s_add_i32 s5, s8, s5
	s_lshl_b32 s9, s14, 3
	s_add_i32 s5, s5, s10
	s_delay_alu instid0(SALU_CYCLE_1) | instskip(NEXT) | instid1(SALU_CYCLE_1)
	s_lshl_b32 s5, s5, 7
	s_add_i32 s7, s7, s5
	s_mul_i32 s5, s13, s6
	v_or_b32_e32 v1, s7, v0
	s_add_i32 s10, s5, s6
	s_delay_alu instid0(VALU_DEP_1) | instskip(NEXT) | instid1(VALU_DEP_1)
	v_ashrrev_i32_e32 v2, 31, v1
	v_lshlrev_b64 v[1:2], 2, v[1:2]
	s_waitcnt lgkmcnt(0)
	s_delay_alu instid0(VALU_DEP_1) | instskip(NEXT) | instid1(VALU_DEP_2)
	v_add_co_u32 v1, vcc_lo, s0, v1
	v_add_co_ci_u32_e32 v2, vcc_lo, s1, v2, vcc_lo
	s_add_i32 s0, s9, s15
	s_lshl_b32 s1, s10, 5
	s_delay_alu instid0(SALU_CYCLE_1) | instskip(SKIP_2) | instid1(SALU_CYCLE_1)
	s_add_i32 s0, s0, s1
	global_load_b32 v5, v[1:2], off
	s_sub_i32 s0, s0, 32
	s_ashr_i32 s1, s0, 31
	s_delay_alu instid0(SALU_CYCLE_1) | instskip(NEXT) | instid1(SALU_CYCLE_1)
	s_lshl_b64 s[0:1], s[0:1], 3
	s_add_u32 s0, s2, s0
	s_addc_u32 s1, s3, s1
	s_add_i32 s7, s10, -2
	s_load_b32 s11, s[0:1], 0x4
	s_cmp_lt_i32 s7, s5
	s_cbranch_scc1 .LBB11_4
; %bb.2:
	s_lshl_b32 s16, s4, 7
	s_load_b32 s12, s[0:1], 0x0
	s_ashr_i32 s17, s16, 31
	s_delay_alu instid0(SALU_CYCLE_1) | instskip(NEXT) | instid1(SALU_CYCLE_1)
	s_lshl_b64 s[0:1], s[16:17], 2
	s_add_u32 s7, s2, s0
	s_addc_u32 s8, s3, s1
	s_add_i32 s13, s13, 1
	s_lshl_b32 s0, s14, 10
	s_lshl_b32 s1, s15, 7
	s_mul_i32 s6, s6, s13
	s_add_i32 s0, s1, s0
	s_lshl_b32 s1, s6, 12
	s_delay_alu instid0(SALU_CYCLE_1)
	s_add_i32 s0, s0, s1
	s_lshl_b32 s1, s6, 5
	v_or_b32_e32 v0, s0, v0
	s_lshl_b32 s0, s4, 5
	s_add_i32 s1, s15, s1
	s_waitcnt lgkmcnt(0)
	v_mov_b32_e32 v6, s11
	s_add_i32 s0, s1, s0
	v_dual_mov_b32 v0, s12 :: v_dual_add_nc_u32 v3, 0xffffe000, v0
	s_add_i32 s0, s0, s9
	s_add_i32 s4, s10, -1
	s_sub_i32 s0, s0, 64
.LBB11_3:                               ; =>This Inner Loop Header: Depth=1
	s_delay_alu instid0(VALU_DEP_1) | instskip(SKIP_1) | instid1(SALU_CYCLE_1)
	v_ashrrev_i32_e32 v4, 31, v3
	s_ashr_i32 s1, s0, 31
	s_lshl_b64 s[10:11], s[0:1], 3
	s_delay_alu instid0(SALU_CYCLE_1) | instskip(NEXT) | instid1(VALU_DEP_1)
	s_add_u32 s10, s2, s10
	v_lshlrev_b64 v[7:8], 2, v[3:4]
	s_addc_u32 s11, s3, s11
	s_add_i32 s4, s4, -1
	s_sub_i32 s0, s0, 32
	s_cmp_le_i32 s4, s5
	s_load_b64 s[10:11], s[10:11], 0x0
	v_add_co_u32 v7, vcc_lo, s7, v7
	v_add_co_ci_u32_e32 v8, vcc_lo, s8, v8, vcc_lo
	global_load_b32 v4, v[7:8], off
	v_max_f32_e32 v7, v0, v0
	s_waitcnt lgkmcnt(0)
	v_max_f32_e64 v8, s10, s10
	s_delay_alu instid0(VALU_DEP_1) | instskip(NEXT) | instid1(VALU_DEP_1)
	v_max_f32_e32 v7, v7, v8
	v_sub_f32_e32 v8, s10, v7
	s_delay_alu instid0(VALU_DEP_1) | instskip(NEXT) | instid1(VALU_DEP_1)
	v_dual_sub_f32 v0, v0, v7 :: v_dual_mul_f32 v9, 0x3fb8aa3b, v8
	v_fma_f32 v10, 0x3fb8aa3b, v8, -v9
	v_rndne_f32_e32 v11, v9
	s_delay_alu instid0(VALU_DEP_3) | instskip(NEXT) | instid1(VALU_DEP_2)
	v_mul_f32_e32 v12, 0x3fb8aa3b, v0
	v_dual_fmac_f32 v10, 0x32a5705f, v8 :: v_dual_sub_f32 v9, v9, v11
	v_cvt_i32_f32_e32 v11, v11
	s_delay_alu instid0(VALU_DEP_3) | instskip(SKIP_1) | instid1(VALU_DEP_4)
	v_fma_f32 v13, 0x3fb8aa3b, v0, -v12
	v_rndne_f32_e32 v14, v12
	v_add_f32_e32 v9, v9, v10
	v_cmp_ngt_f32_e32 vcc_lo, 0xc2ce8ed0, v8
	s_delay_alu instid0(VALU_DEP_3) | instskip(NEXT) | instid1(VALU_DEP_3)
	v_sub_f32_e32 v10, v12, v14
	v_exp_f32_e32 v9, v9
	s_waitcnt_depctr 0xfff
	v_ldexp_f32 v9, v9, v11
	v_cvt_i32_f32_e32 v11, v14
	s_delay_alu instid0(VALU_DEP_2) | instskip(SKIP_1) | instid1(VALU_DEP_2)
	v_cndmask_b32_e32 v9, 0, v9, vcc_lo
	v_cmp_nlt_f32_e32 vcc_lo, 0x42b17218, v8
	v_cndmask_b32_e32 v9, 0x7f800000, v9, vcc_lo
	v_cmp_ngt_f32_e32 vcc_lo, 0xc2ce8ed0, v0
	v_fmac_f32_e32 v13, 0x32a5705f, v0
	s_delay_alu instid0(VALU_DEP_1) | instskip(NEXT) | instid1(VALU_DEP_1)
	v_add_f32_e32 v10, v10, v13
	v_exp_f32_e32 v10, v10
	s_waitcnt_depctr 0xfff
	v_ldexp_f32 v10, v10, v11
	s_delay_alu instid0(VALU_DEP_1)
	v_dual_mov_b32 v11, v6 :: v_dual_cndmask_b32 v10, 0, v10
	v_cmp_le_f32_e32 vcc_lo, 0xc1a00000, v8
	s_waitcnt vmcnt(1)
	v_dual_cndmask_b32 v8, 0, v9 :: v_dual_mov_b32 v9, v5
	v_cmp_nlt_f32_e32 vcc_lo, 0x42b17218, v0
	v_cndmask_b32_e32 v5, 0x7f800000, v10, vcc_lo
	s_delay_alu instid0(VALU_DEP_3) | instskip(SKIP_2) | instid1(VALU_DEP_3)
	v_mul_f32_e32 v10, s11, v8
	v_cmp_le_f32_e32 vcc_lo, 0xc1a00000, v0
	v_mov_b32_e32 v0, v7
	v_mov_b32_e32 v6, v10
	s_waitcnt vmcnt(0)
	v_dual_cndmask_b32 v12, 0, v5 :: v_dual_mul_f32 v5, v4, v8
	s_delay_alu instid0(VALU_DEP_1) | instskip(NEXT) | instid1(VALU_DEP_2)
	v_dual_fmac_f32 v6, v11, v12 :: v_dual_add_nc_u32 v3, 0xfffff000, v3
	v_fmac_f32_e32 v5, v9, v12
	s_cbranch_scc0 .LBB11_3
	s_branch .LBB11_5
.LBB11_4:
	s_waitcnt lgkmcnt(0)
	v_mov_b32_e32 v6, s11
.LBB11_5:
	s_waitcnt vmcnt(0)
	s_delay_alu instid0(VALU_DEP_1) | instskip(NEXT) | instid1(VALU_DEP_1)
	v_div_scale_f32 v0, null, v6, v6, v5
	v_rcp_f32_e32 v3, v0
	s_waitcnt_depctr 0xfff
	v_fma_f32 v4, -v0, v3, 1.0
	s_delay_alu instid0(VALU_DEP_1) | instskip(SKIP_1) | instid1(VALU_DEP_1)
	v_fmac_f32_e32 v3, v4, v3
	v_div_scale_f32 v4, vcc_lo, v5, v6, v5
	v_mul_f32_e32 v7, v4, v3
	s_delay_alu instid0(VALU_DEP_1) | instskip(NEXT) | instid1(VALU_DEP_1)
	v_fma_f32 v8, -v0, v7, v4
	v_fmac_f32_e32 v7, v8, v3
	s_delay_alu instid0(VALU_DEP_1) | instskip(NEXT) | instid1(VALU_DEP_1)
	v_fma_f32 v0, -v0, v7, v4
	v_div_fmas_f32 v0, v0, v3, v7
	s_delay_alu instid0(VALU_DEP_1)
	v_div_fixup_f32 v0, v0, v6, v5
	global_store_b32 v[1:2], v0, off
.LBB11_6:
	s_nop 0
	s_sendmsg sendmsg(MSG_DEALLOC_VGPRS)
	s_endpgm
	.section	.rodata,"a",@progbits
	.p2align	6, 0x0
	.amdhsa_kernel _ZL33flash_attn_stream_k_fixup_uniformILi128ELi4ELi8EEvPfPK15HIP_vector_typeIfLj2EEiiiiiiS1_IjLj3EES5_S5_
		.amdhsa_group_segment_fixed_size 0
		.amdhsa_private_segment_fixed_size 0
		.amdhsa_kernarg_size 76
		.amdhsa_user_sgpr_count 13
		.amdhsa_user_sgpr_dispatch_ptr 0
		.amdhsa_user_sgpr_queue_ptr 0
		.amdhsa_user_sgpr_kernarg_segment_ptr 1
		.amdhsa_user_sgpr_dispatch_id 0
		.amdhsa_user_sgpr_private_segment_size 0
		.amdhsa_wavefront_size32 1
		.amdhsa_uses_dynamic_stack 0
		.amdhsa_enable_private_segment 0
		.amdhsa_system_sgpr_workgroup_id_x 1
		.amdhsa_system_sgpr_workgroup_id_y 1
		.amdhsa_system_sgpr_workgroup_id_z 1
		.amdhsa_system_sgpr_workgroup_info 0
		.amdhsa_system_vgpr_workitem_id 0
		.amdhsa_next_free_vgpr 15
		.amdhsa_next_free_sgpr 20
		.amdhsa_reserve_vcc 1
		.amdhsa_float_round_mode_32 0
		.amdhsa_float_round_mode_16_64 0
		.amdhsa_float_denorm_mode_32 3
		.amdhsa_float_denorm_mode_16_64 3
		.amdhsa_dx10_clamp 1
		.amdhsa_ieee_mode 1
		.amdhsa_fp16_overflow 0
		.amdhsa_workgroup_processor_mode 1
		.amdhsa_memory_ordered 1
		.amdhsa_forward_progress 0
		.amdhsa_shared_vgpr_count 0
		.amdhsa_exception_fp_ieee_invalid_op 0
		.amdhsa_exception_fp_denorm_src 0
		.amdhsa_exception_fp_ieee_div_zero 0
		.amdhsa_exception_fp_ieee_overflow 0
		.amdhsa_exception_fp_ieee_underflow 0
		.amdhsa_exception_fp_ieee_inexact 0
		.amdhsa_exception_int_div_zero 0
	.end_amdhsa_kernel
	.section	.text._ZL33flash_attn_stream_k_fixup_uniformILi128ELi4ELi8EEvPfPK15HIP_vector_typeIfLj2EEiiiiiiS1_IjLj3EES5_S5_,"axG",@progbits,_ZL33flash_attn_stream_k_fixup_uniformILi128ELi4ELi8EEvPfPK15HIP_vector_typeIfLj2EEiiiiiiS1_IjLj3EES5_S5_,comdat
.Lfunc_end11:
	.size	_ZL33flash_attn_stream_k_fixup_uniformILi128ELi4ELi8EEvPfPK15HIP_vector_typeIfLj2EEiiiiiiS1_IjLj3EES5_S5_, .Lfunc_end11-_ZL33flash_attn_stream_k_fixup_uniformILi128ELi4ELi8EEvPfPK15HIP_vector_typeIfLj2EEiiiiiiS1_IjLj3EES5_S5_
                                        ; -- End function
	.section	.AMDGPU.csdata,"",@progbits
; Kernel info:
; codeLenInByte = 996
; NumSgprs: 22
; NumVgprs: 15
; ScratchSize: 0
; MemoryBound: 0
; FloatMode: 240
; IeeeMode: 1
; LDSByteSize: 0 bytes/workgroup (compile time only)
; SGPRBlocks: 2
; VGPRBlocks: 1
; NumSGPRsForWavesPerEU: 22
; NumVGPRsForWavesPerEU: 15
; Occupancy: 16
; WaveLimiterHint : 0
; COMPUTE_PGM_RSRC2:SCRATCH_EN: 0
; COMPUTE_PGM_RSRC2:USER_SGPR: 13
; COMPUTE_PGM_RSRC2:TRAP_HANDLER: 0
; COMPUTE_PGM_RSRC2:TGID_X_EN: 1
; COMPUTE_PGM_RSRC2:TGID_Y_EN: 1
; COMPUTE_PGM_RSRC2:TGID_Z_EN: 1
; COMPUTE_PGM_RSRC2:TIDIG_COMP_CNT: 0
	.section	.text._ZL33flash_attn_stream_k_fixup_generalILi128ELi4ELi8EEvPfPK15HIP_vector_typeIfLj2EEiiiiS1_IjLj3EES5_S5_S5_,"axG",@progbits,_ZL33flash_attn_stream_k_fixup_generalILi128ELi4ELi8EEvPfPK15HIP_vector_typeIfLj2EEiiiiS1_IjLj3EES5_S5_S5_,comdat
	.globl	_ZL33flash_attn_stream_k_fixup_generalILi128ELi4ELi8EEvPfPK15HIP_vector_typeIfLj2EEiiiiS1_IjLj3EES5_S5_S5_ ; -- Begin function _ZL33flash_attn_stream_k_fixup_generalILi128ELi4ELi8EEvPfPK15HIP_vector_typeIfLj2EEiiiiS1_IjLj3EES5_S5_S5_
	.p2align	8
	.type	_ZL33flash_attn_stream_k_fixup_generalILi128ELi4ELi8EEvPfPK15HIP_vector_typeIfLj2EEiiiiS1_IjLj3EES5_S5_S5_,@function
_ZL33flash_attn_stream_k_fixup_generalILi128ELi4ELi8EEvPfPK15HIP_vector_typeIfLj2EEiiiiS1_IjLj3EES5_S5_S5_: ; @_ZL33flash_attn_stream_k_fixup_generalILi128ELi4ELi8EEvPfPK15HIP_vector_typeIfLj2EEiiiiS1_IjLj3EES5_S5_S5_
; %bb.0:
	s_clause 0x1
	s_load_b128 s[4:7], s[0:1], 0x10
	s_load_b32 s20, s[0:1], 0x50
	s_mov_b32 s2, 0
	s_waitcnt lgkmcnt(0)
	s_mul_hi_i32 s3, s7, s13
	s_mul_i32 s12, s7, s13
	s_cmp_lg_u64 s[2:3], 0
	s_cbranch_scc0 .LBB12_21
; %bb.1:
	v_cvt_f32_ubyte0_e32 v1, 0
	v_cvt_f32_u32_e32 v2, s20
	s_sub_u32 s10, 0, s20
	s_subb_u32 s11, 0, 0
	s_delay_alu instid0(VALU_DEP_1) | instskip(NEXT) | instid1(VALU_DEP_1)
	v_fmamk_f32 v1, v1, 0x4f800000, v2
	v_rcp_f32_e32 v1, v1
	s_waitcnt_depctr 0xfff
	v_mul_f32_e32 v1, 0x5f7ffffc, v1
	s_delay_alu instid0(VALU_DEP_1) | instskip(NEXT) | instid1(VALU_DEP_1)
	v_mul_f32_e32 v2, 0x2f800000, v1
	v_trunc_f32_e32 v2, v2
	s_delay_alu instid0(VALU_DEP_1) | instskip(SKIP_1) | instid1(VALU_DEP_2)
	v_fmamk_f32 v1, v2, 0xcf800000, v1
	v_cvt_u32_f32_e32 v2, v2
	v_cvt_u32_f32_e32 v1, v1
	s_delay_alu instid0(VALU_DEP_2) | instskip(NEXT) | instid1(VALU_DEP_2)
	v_readfirstlane_b32 s8, v2
	v_readfirstlane_b32 s9, v1
	s_delay_alu instid0(VALU_DEP_2) | instskip(NEXT) | instid1(VALU_DEP_1)
	s_mul_i32 s16, s10, s8
	s_mul_hi_u32 s18, s10, s9
	s_mul_i32 s17, s11, s9
	s_add_i32 s16, s18, s16
	s_mul_i32 s19, s10, s9
	s_add_i32 s16, s16, s17
	s_mul_hi_u32 s18, s9, s19
	s_mul_hi_u32 s21, s8, s19
	s_mul_i32 s17, s8, s19
	s_mul_hi_u32 s19, s9, s16
	s_mul_i32 s9, s9, s16
	s_mul_hi_u32 s22, s8, s16
	s_add_u32 s9, s18, s9
	s_addc_u32 s18, 0, s19
	s_add_u32 s9, s9, s17
	s_mul_i32 s16, s8, s16
	s_addc_u32 s9, s18, s21
	s_addc_u32 s17, s22, 0
	s_add_u32 s9, s9, s16
	s_addc_u32 s16, 0, s17
	v_add_co_u32 v1, s9, v1, s9
	s_delay_alu instid0(VALU_DEP_1) | instskip(SKIP_1) | instid1(VALU_DEP_1)
	s_cmp_lg_u32 s9, 0
	s_addc_u32 s8, s8, s16
	v_readfirstlane_b32 s9, v1
	s_mul_i32 s16, s10, s8
	s_delay_alu instid0(VALU_DEP_1)
	s_mul_hi_u32 s17, s10, s9
	s_mul_i32 s11, s11, s9
	s_add_i32 s16, s17, s16
	s_mul_i32 s10, s10, s9
	s_add_i32 s16, s16, s11
	s_mul_hi_u32 s17, s8, s10
	s_mul_i32 s18, s8, s10
	s_mul_hi_u32 s10, s9, s10
	s_mul_hi_u32 s19, s9, s16
	s_mul_i32 s9, s9, s16
	s_mul_hi_u32 s11, s8, s16
	s_add_u32 s9, s10, s9
	s_addc_u32 s10, 0, s19
	s_add_u32 s9, s9, s18
	s_mul_i32 s16, s8, s16
	s_addc_u32 s9, s10, s17
	s_addc_u32 s10, s11, 0
	s_add_u32 s9, s9, s16
	s_addc_u32 s10, 0, s10
	v_add_co_u32 v1, s9, v1, s9
	s_delay_alu instid0(VALU_DEP_1) | instskip(SKIP_2) | instid1(SALU_CYCLE_1)
	s_cmp_lg_u32 s9, 0
	s_addc_u32 s16, s8, s10
	s_ashr_i32 s8, s3, 31
	s_add_u32 s10, s12, s8
	s_addc_u32 s11, s3, s8
	v_readfirstlane_b32 s3, v1
	s_mov_b32 s9, s8
	s_delay_alu instid0(SALU_CYCLE_1) | instskip(NEXT) | instid1(SALU_CYCLE_1)
	s_xor_b64 s[10:11], s[10:11], s[8:9]
	s_mul_i32 s18, s10, s16
	s_delay_alu instid0(VALU_DEP_1)
	s_mul_hi_u32 s19, s10, s3
	s_mul_hi_u32 s17, s10, s16
	;; [unrolled: 1-line block ×3, first 2 shown]
	s_mul_i32 s3, s11, s3
	s_add_u32 s18, s19, s18
	s_addc_u32 s17, 0, s17
	s_mul_hi_u32 s21, s11, s16
	s_add_u32 s3, s18, s3
	s_mul_i32 s16, s11, s16
	s_addc_u32 s3, s17, s22
	s_addc_u32 s17, s21, 0
	s_add_u32 s3, s3, s16
	s_addc_u32 s16, 0, s17
	s_mul_i32 s18, s20, s3
	s_add_u32 s17, s3, 1
	v_sub_co_u32 v1, s10, s10, s18
	s_mul_hi_u32 s18, s20, s3
	s_addc_u32 s19, s16, 0
	s_mul_i32 s21, s20, s16
	s_delay_alu instid0(VALU_DEP_1)
	v_sub_co_u32 v2, s22, v1, s20
	s_add_u32 s23, s3, 2
	s_addc_u32 s24, s16, 0
	s_add_i32 s18, s18, s21
	s_cmp_lg_u32 s10, 0
	v_readfirstlane_b32 s10, v2
	s_subb_u32 s11, s11, s18
	s_cmp_lg_u32 s22, 0
	s_subb_u32 s18, s11, 0
	s_delay_alu instid0(VALU_DEP_1) | instskip(SKIP_4) | instid1(SALU_CYCLE_1)
	s_cmp_ge_u32 s10, s20
	s_cselect_b32 s10, -1, 0
	s_cmp_eq_u32 s18, 0
	v_readfirstlane_b32 s18, v1
	s_cselect_b32 s10, s10, -1
	s_cmp_lg_u32 s10, 0
	s_cselect_b32 s10, s23, s17
	s_cselect_b32 s17, s24, s19
	s_cmp_ge_u32 s18, s20
	s_cselect_b32 s18, -1, 0
	s_cmp_eq_u32 s11, 0
	s_cselect_b32 s11, s18, -1
	s_delay_alu instid0(SALU_CYCLE_1) | instskip(SKIP_2) | instid1(SALU_CYCLE_1)
	s_cmp_lg_u32 s11, 0
	s_cselect_b32 s11, s17, s16
	s_cselect_b32 s10, s10, s3
	s_xor_b64 s[10:11], s[10:11], s[8:9]
	s_delay_alu instid0(SALU_CYCLE_1)
	s_sub_u32 s16, s10, s8
	s_load_b128 s[8:11], s[0:1], 0x44
	s_and_not1_b32 vcc_lo, exec_lo, s2
	s_cbranch_vccnz .LBB12_3
.LBB12_2:
	v_cvt_f32_u32_e32 v1, s20
	s_sub_i32 s3, 0, s20
	s_delay_alu instid0(VALU_DEP_1) | instskip(SKIP_2) | instid1(VALU_DEP_1)
	v_rcp_iflag_f32_e32 v1, v1
	s_waitcnt_depctr 0xfff
	v_mul_f32_e32 v1, 0x4f7ffffe, v1
	v_cvt_u32_f32_e32 v1, v1
	s_delay_alu instid0(VALU_DEP_1) | instskip(NEXT) | instid1(VALU_DEP_1)
	v_readfirstlane_b32 s2, v1
	s_mul_i32 s3, s3, s2
	s_delay_alu instid0(SALU_CYCLE_1) | instskip(NEXT) | instid1(SALU_CYCLE_1)
	s_mul_hi_u32 s3, s2, s3
	s_add_i32 s2, s2, s3
	s_delay_alu instid0(SALU_CYCLE_1) | instskip(NEXT) | instid1(SALU_CYCLE_1)
	s_mul_hi_u32 s2, s12, s2
	s_mul_i32 s3, s2, s20
	s_waitcnt lgkmcnt(0)
	s_add_i32 s11, s2, 1
	s_sub_i32 s3, s12, s3
	s_delay_alu instid0(SALU_CYCLE_1)
	s_sub_i32 s12, s3, s20
	s_cmp_ge_u32 s3, s20
	s_cselect_b32 s2, s11, s2
	s_cselect_b32 s3, s12, s3
	s_add_i32 s11, s2, 1
	s_cmp_ge_u32 s3, s20
	s_cselect_b32 s16, s11, s2
.LBB12_3:
	s_waitcnt lgkmcnt(0)
	s_add_i32 s11, s13, 1
	s_mov_b32 s2, 0
	s_mul_hi_i32 s3, s7, s11
	s_mul_i32 s11, s7, s11
	s_cmp_lg_u64 s[2:3], 0
	s_cbranch_scc0 .LBB12_22
; %bb.4:
	v_cvt_f32_ubyte0_e32 v1, 0
	v_cvt_f32_u32_e32 v2, s20
	s_sub_u32 s18, 0, s20
	s_subb_u32 s19, 0, 0
	s_delay_alu instid0(VALU_DEP_1) | instskip(NEXT) | instid1(VALU_DEP_1)
	v_fmamk_f32 v1, v1, 0x4f800000, v2
	v_rcp_f32_e32 v1, v1
	s_waitcnt_depctr 0xfff
	v_mul_f32_e32 v1, 0x5f7ffffc, v1
	s_delay_alu instid0(VALU_DEP_1) | instskip(NEXT) | instid1(VALU_DEP_1)
	v_mul_f32_e32 v2, 0x2f800000, v1
	v_trunc_f32_e32 v2, v2
	s_delay_alu instid0(VALU_DEP_1) | instskip(SKIP_1) | instid1(VALU_DEP_2)
	v_fmamk_f32 v1, v2, 0xcf800000, v1
	v_cvt_u32_f32_e32 v2, v2
	v_cvt_u32_f32_e32 v1, v1
	s_delay_alu instid0(VALU_DEP_2) | instskip(NEXT) | instid1(VALU_DEP_2)
	v_readfirstlane_b32 s12, v2
	v_readfirstlane_b32 s17, v1
	s_delay_alu instid0(VALU_DEP_2) | instskip(NEXT) | instid1(VALU_DEP_1)
	s_mul_i32 s21, s18, s12
	s_mul_hi_u32 s23, s18, s17
	s_mul_i32 s22, s19, s17
	s_add_i32 s21, s23, s21
	s_mul_i32 s24, s18, s17
	s_add_i32 s21, s21, s22
	s_mul_hi_u32 s23, s17, s24
	s_mul_hi_u32 s25, s12, s24
	s_mul_i32 s22, s12, s24
	s_mul_hi_u32 s24, s17, s21
	s_mul_i32 s17, s17, s21
	s_mul_hi_u32 s26, s12, s21
	s_add_u32 s17, s23, s17
	s_addc_u32 s23, 0, s24
	s_add_u32 s17, s17, s22
	s_mul_i32 s21, s12, s21
	s_addc_u32 s17, s23, s25
	s_addc_u32 s22, s26, 0
	s_add_u32 s17, s17, s21
	s_addc_u32 s21, 0, s22
	v_add_co_u32 v1, s17, v1, s17
	s_delay_alu instid0(VALU_DEP_1) | instskip(SKIP_1) | instid1(VALU_DEP_1)
	s_cmp_lg_u32 s17, 0
	s_addc_u32 s12, s12, s21
	v_readfirstlane_b32 s17, v1
	s_mul_i32 s21, s18, s12
	s_delay_alu instid0(VALU_DEP_1)
	s_mul_hi_u32 s22, s18, s17
	s_mul_i32 s19, s19, s17
	s_add_i32 s21, s22, s21
	s_mul_i32 s18, s18, s17
	s_add_i32 s21, s21, s19
	s_mul_hi_u32 s22, s12, s18
	s_mul_i32 s23, s12, s18
	s_mul_hi_u32 s18, s17, s18
	s_mul_hi_u32 s24, s17, s21
	s_mul_i32 s17, s17, s21
	s_mul_hi_u32 s19, s12, s21
	s_add_u32 s17, s18, s17
	s_addc_u32 s18, 0, s24
	s_add_u32 s17, s17, s23
	s_mul_i32 s21, s12, s21
	s_addc_u32 s17, s18, s22
	s_addc_u32 s18, s19, 0
	s_add_u32 s17, s17, s21
	s_addc_u32 s18, 0, s18
	v_add_co_u32 v1, s17, v1, s17
	s_delay_alu instid0(VALU_DEP_1) | instskip(SKIP_2) | instid1(SALU_CYCLE_1)
	s_cmp_lg_u32 s17, 0
	s_addc_u32 s12, s12, s18
	s_ashr_i32 s18, s3, 31
	s_add_u32 s22, s11, s18
	s_addc_u32 s23, s3, s18
	v_readfirstlane_b32 s3, v1
	s_mov_b32 s19, s18
	s_delay_alu instid0(SALU_CYCLE_1) | instskip(NEXT) | instid1(SALU_CYCLE_1)
	s_xor_b64 s[22:23], s[22:23], s[18:19]
	s_mul_i32 s21, s22, s12
	s_delay_alu instid0(VALU_DEP_1)
	s_mul_hi_u32 s24, s22, s3
	s_mul_hi_u32 s17, s22, s12
	;; [unrolled: 1-line block ×3, first 2 shown]
	s_mul_i32 s3, s23, s3
	s_add_u32 s21, s24, s21
	s_addc_u32 s17, 0, s17
	s_mul_hi_u32 s25, s23, s12
	s_add_u32 s3, s21, s3
	s_mul_i32 s12, s23, s12
	s_addc_u32 s3, s17, s26
	s_addc_u32 s17, s25, 0
	s_add_u32 s3, s3, s12
	s_addc_u32 s12, 0, s17
	s_mul_i32 s21, s20, s3
	s_add_u32 s17, s3, 1
	v_sub_co_u32 v1, s21, s22, s21
	s_mul_hi_u32 s22, s20, s3
	s_addc_u32 s24, s12, 0
	s_mul_i32 s25, s20, s12
	s_delay_alu instid0(VALU_DEP_1)
	v_sub_co_u32 v2, s26, v1, s20
	s_add_u32 s27, s3, 2
	s_addc_u32 s28, s12, 0
	s_add_i32 s22, s22, s25
	s_cmp_lg_u32 s21, 0
	v_readfirstlane_b32 s21, v2
	s_subb_u32 s22, s23, s22
	s_cmp_lg_u32 s26, 0
	s_subb_u32 s23, s22, 0
	s_delay_alu instid0(VALU_DEP_1) | instskip(SKIP_4) | instid1(SALU_CYCLE_1)
	s_cmp_ge_u32 s21, s20
	s_cselect_b32 s21, -1, 0
	s_cmp_eq_u32 s23, 0
	v_readfirstlane_b32 s23, v1
	s_cselect_b32 s21, s21, -1
	s_cmp_lg_u32 s21, 0
	s_cselect_b32 s17, s27, s17
	s_cselect_b32 s21, s28, s24
	s_cmp_ge_u32 s23, s20
	s_cselect_b32 s23, -1, 0
	s_cmp_eq_u32 s22, 0
	s_cselect_b32 s22, s23, -1
	s_delay_alu instid0(SALU_CYCLE_1) | instskip(SKIP_2) | instid1(SALU_CYCLE_1)
	s_cmp_lg_u32 s22, 0
	s_cselect_b32 s23, s21, s12
	s_cselect_b32 s22, s17, s3
	s_xor_b64 s[22:23], s[22:23], s[18:19]
	s_delay_alu instid0(SALU_CYCLE_1)
	s_sub_u32 s18, s22, s18
	s_and_not1_b32 vcc_lo, exec_lo, s2
	s_cbranch_vccnz .LBB12_6
.LBB12_5:
	v_cvt_f32_u32_e32 v1, s20
	s_sub_i32 s3, 0, s20
	s_delay_alu instid0(VALU_DEP_1) | instskip(SKIP_2) | instid1(VALU_DEP_1)
	v_rcp_iflag_f32_e32 v1, v1
	s_waitcnt_depctr 0xfff
	v_mul_f32_e32 v1, 0x4f7ffffe, v1
	v_cvt_u32_f32_e32 v1, v1
	s_delay_alu instid0(VALU_DEP_1) | instskip(NEXT) | instid1(VALU_DEP_1)
	v_readfirstlane_b32 s2, v1
	s_mul_i32 s3, s3, s2
	s_delay_alu instid0(SALU_CYCLE_1) | instskip(NEXT) | instid1(SALU_CYCLE_1)
	s_mul_hi_u32 s3, s2, s3
	s_add_i32 s2, s2, s3
	s_delay_alu instid0(SALU_CYCLE_1) | instskip(NEXT) | instid1(SALU_CYCLE_1)
	s_mul_hi_u32 s2, s11, s2
	s_mul_i32 s3, s2, s20
	s_delay_alu instid0(SALU_CYCLE_1)
	s_sub_i32 s3, s11, s3
	s_add_i32 s11, s2, 1
	s_sub_i32 s12, s3, s20
	s_cmp_ge_u32 s3, s20
	s_cselect_b32 s2, s11, s2
	s_cselect_b32 s3, s12, s3
	s_add_i32 s11, s2, 1
	s_cmp_ge_u32 s3, s20
	s_cselect_b32 s18, s11, s2
.LBB12_6:
	s_delay_alu instid0(SALU_CYCLE_1) | instskip(SKIP_3) | instid1(SALU_CYCLE_1)
	s_cmp_eq_u32 s16, s18
	s_mul_hi_u32 s2, s16, s8
	s_cselect_b32 s3, -1, 0
	s_add_i32 s2, s2, s16
	s_lshr_b32 s11, s2, s9
	s_delay_alu instid0(SALU_CYCLE_1) | instskip(NEXT) | instid1(SALU_CYCLE_1)
	s_mul_i32 s2, s11, s10
	s_cmp_eq_u32 s2, s16
	s_mul_hi_u32 s2, s18, s8
	s_cselect_b32 s12, -1, 0
	s_add_i32 s2, s2, s18
	s_delay_alu instid0(SALU_CYCLE_1) | instskip(NEXT) | instid1(SALU_CYCLE_1)
	s_lshr_b32 s2, s2, s9
	s_cmp_eq_u32 s11, s2
	s_mul_i32 s2, s2, s10
	s_cselect_b32 s17, -1, 0
	s_cmp_lg_u32 s2, s18
	s_cselect_b32 s2, -1, 0
	s_or_b32 s3, s3, s12
	s_and_b32 s2, s17, s2
	s_delay_alu instid0(SALU_CYCLE_1) | instskip(NEXT) | instid1(SALU_CYCLE_1)
	s_or_b32 s2, s3, s2
	s_and_b32 vcc_lo, exec_lo, s2
	s_cbranch_vccnz .LBB12_24
; %bb.7:
	s_load_b256 s[24:31], s[0:1], 0x20
	s_waitcnt lgkmcnt(0)
	s_mul_hi_u32 s2, s16, s24
	s_delay_alu instid0(SALU_CYCLE_1) | instskip(NEXT) | instid1(SALU_CYCLE_1)
	s_add_i32 s2, s2, s16
	s_lshr_b32 s17, s2, s25
	s_load_b32 s2, s[0:1], 0x40
	s_mul_i32 s3, s17, s26
	s_delay_alu instid0(SALU_CYCLE_1) | instskip(NEXT) | instid1(SALU_CYCLE_1)
	s_sub_i32 s3, s16, s3
	s_mul_hi_u32 s12, s3, s27
	s_delay_alu instid0(SALU_CYCLE_1) | instskip(NEXT) | instid1(SALU_CYCLE_1)
	s_add_i32 s12, s3, s12
	s_lshr_b32 s21, s12, s28
	s_delay_alu instid0(SALU_CYCLE_1) | instskip(NEXT) | instid1(SALU_CYCLE_1)
	s_mul_i32 s12, s21, s29
	s_sub_i32 s3, s3, s12
	s_delay_alu instid0(SALU_CYCLE_1) | instskip(NEXT) | instid1(SALU_CYCLE_1)
	s_mul_hi_u32 s12, s3, s30
	s_add_i32 s12, s3, s12
	s_delay_alu instid0(SALU_CYCLE_1)
	s_lshr_b32 s12, s12, s31
	s_waitcnt lgkmcnt(0)
	s_mul_i32 s2, s12, s2
	s_lshl_b32 s23, s12, 3
	s_sub_i32 s2, s3, s2
	s_mov_b32 s12, 0
	s_mul_hi_u32 s3, s2, s8
	s_delay_alu instid0(SALU_CYCLE_1) | instskip(NEXT) | instid1(SALU_CYCLE_1)
	s_add_i32 s2, s2, s3
	s_lshr_b32 s22, s2, s9
	s_delay_alu instid0(SALU_CYCLE_1) | instskip(NEXT) | instid1(SALU_CYCLE_1)
	s_lshl_b32 s2, s22, 2
	s_add_i32 s2, s2, s14
	s_delay_alu instid0(SALU_CYCLE_1) | instskip(SKIP_2) | instid1(SALU_CYCLE_1)
	s_cmp_lt_i32 s2, s4
	s_cselect_b32 s2, -1, 0
	s_add_i32 s3, s23, s15
	s_cmp_lt_i32 s3, s6
	s_cselect_b32 s3, -1, 0
	s_delay_alu instid0(SALU_CYCLE_1) | instskip(NEXT) | instid1(SALU_CYCLE_1)
	s_and_b32 s2, s2, s3
	s_and_not1_b32 vcc_lo, exec_lo, s2
	s_cbranch_vccnz .LBB12_24
; %bb.8:
	s_load_b128 s[0:3], s[0:1], 0x0
	s_lshl_b32 s18, s20, 7
	s_mov_b32 s19, s12
	s_lshl_b32 s24, s14, 3
	s_lshl_b64 s[18:19], s[18:19], 2
	s_mul_i32 s4, s17, s4
	s_add_i32 s17, s24, s15
	s_mul_i32 s21, s21, s6
	v_cvt_f32_ubyte0_e32 v4, 0
	v_cvt_f32_u32_e32 v5, s20
	s_waitcnt lgkmcnt(0)
	s_add_u32 s18, s2, s18
	s_addc_u32 s19, s3, s19
	s_add_i32 s4, s4, s14
	s_delay_alu instid0(SALU_CYCLE_1) | instskip(SKIP_4) | instid1(SALU_CYCLE_1)
	s_mul_i32 s4, s4, s5
	s_mul_i32 s5, s5, s22
	s_add_i32 s4, s4, s15
	s_lshl_b32 s5, s5, 9
	s_add_i32 s4, s4, s21
	s_add_i32 s4, s4, s23
	s_delay_alu instid0(SALU_CYCLE_1) | instskip(NEXT) | instid1(SALU_CYCLE_1)
	s_lshl_b32 s4, s4, 7
	s_add_i32 s5, s5, s4
	s_delay_alu instid0(SALU_CYCLE_1) | instskip(SKIP_1) | instid1(VALU_DEP_2)
	v_or_b32_e32 v1, s5, v0
	v_lshl_or_b32 v0, s17, 7, v0
	v_ashrrev_i32_e32 v2, 31, v1
	s_delay_alu instid0(VALU_DEP_1) | instskip(NEXT) | instid1(VALU_DEP_1)
	v_lshlrev_b64 v[1:2], 2, v[1:2]
	v_add_co_u32 v1, vcc_lo, s0, v1
	s_delay_alu instid0(VALU_DEP_2) | instskip(SKIP_1) | instid1(SALU_CYCLE_1)
	v_add_co_ci_u32_e32 v2, vcc_lo, s1, v2, vcc_lo
	s_lshl_b32 s0, s13, 5
	s_add_i32 s0, s17, s0
	global_load_b32 v3, v[1:2], off
	s_ashr_i32 s1, s0, 31
	s_delay_alu instid0(SALU_CYCLE_1) | instskip(NEXT) | instid1(SALU_CYCLE_1)
	s_lshl_b64 s[0:1], s[0:1], 3
	s_add_u32 s0, s2, s0
	s_addc_u32 s1, s3, s1
	s_add_i32 s14, s13, -1
	s_load_b64 s[0:1], s[0:1], 0x0
	v_fmac_f32_e32 v5, 0x4f800000, v4
	s_sub_i32 s6, 0, s20
	s_waitcnt lgkmcnt(0)
	v_mov_b32_e32 v8, s0
	s_delay_alu instid0(VALU_DEP_2) | instskip(SKIP_2) | instid1(VALU_DEP_2)
	v_rcp_f32_e32 v4, v5
	v_cvt_f32_u32_e32 v5, s20
	v_mov_b32_e32 v7, s1
	v_rcp_iflag_f32_e32 v5, v5
	s_waitcnt_depctr 0xfff
	v_mul_f32_e32 v4, 0x5f7ffffc, v4
	s_delay_alu instid0(VALU_DEP_1) | instskip(SKIP_1) | instid1(VALU_DEP_2)
	v_mul_f32_e32 v6, 0x2f800000, v4
	v_mul_f32_e32 v9, 0x4f7ffffe, v5
	v_trunc_f32_e32 v6, v6
	s_delay_alu instid0(VALU_DEP_1) | instskip(SKIP_1) | instid1(VALU_DEP_4)
	v_fmac_f32_e32 v4, 0xcf800000, v6
	v_cvt_u32_f32_e32 v5, v6
	v_cvt_u32_f32_e32 v6, v9
	s_delay_alu instid0(VALU_DEP_3)
	v_cvt_u32_f32_e32 v4, v4
.LBB12_9:                               ; =>This Inner Loop Header: Depth=1
	s_mul_hi_i32 s13, s14, s7
	s_mul_i32 s4, s14, s7
	s_cmp_lg_u64 s[12:13], 0
	s_mov_b32 s5, -1
                                        ; implicit-def: $sgpr0_sgpr1
	s_cbranch_scc0 .LBB12_11
; %bb.10:                               ;   in Loop: Header=BB12_9 Depth=1
	v_readfirstlane_b32 s0, v4
	v_readfirstlane_b32 s1, v5
	s_sub_u32 s5, 0, s20
	s_subb_u32 s15, 0, 0
	s_delay_alu instid0(VALU_DEP_2) | instskip(NEXT) | instid1(VALU_DEP_1)
	s_mul_hi_u32 s21, s5, s0
	s_mul_i32 s22, s5, s1
	s_mul_i32 s23, s15, s0
	s_add_i32 s21, s21, s22
	s_mul_i32 s22, s5, s0
	s_add_i32 s21, s21, s23
	s_mul_hi_u32 s23, s0, s22
	s_mul_i32 s24, s0, s21
	s_mul_hi_u32 s0, s0, s21
	s_add_u32 s23, s23, s24
	s_mul_i32 s25, s1, s22
	s_addc_u32 s0, 0, s0
	s_mul_hi_u32 s22, s1, s22
	s_mul_hi_u32 s24, s1, s21
	s_add_u32 s23, s23, s25
	s_addc_u32 s0, s0, s22
	s_mul_i32 s21, s1, s21
	s_addc_u32 s22, s24, 0
	s_add_u32 s0, s0, s21
	s_addc_u32 s21, 0, s22
	v_add_co_u32 v9, s0, v4, s0
	s_delay_alu instid0(VALU_DEP_1) | instskip(SKIP_1) | instid1(VALU_DEP_1)
	s_cmp_lg_u32 s0, 0
	s_addc_u32 s1, s1, s21
	v_readfirstlane_b32 s0, v9
	s_mul_i32 s21, s5, s1
	s_delay_alu instid0(VALU_DEP_1)
	s_mul_hi_u32 s22, s5, s0
	s_mul_i32 s15, s15, s0
	s_add_i32 s21, s22, s21
	s_mul_i32 s5, s5, s0
	s_add_i32 s21, s21, s15
	s_mul_hi_u32 s15, s1, s5
	s_mul_i32 s23, s1, s5
	s_mul_i32 s24, s0, s21
	s_mul_hi_u32 s5, s0, s5
	s_mul_hi_u32 s0, s0, s21
	s_add_u32 s5, s5, s24
	s_addc_u32 s0, 0, s0
	s_mul_hi_u32 s22, s1, s21
	s_add_u32 s5, s5, s23
	s_addc_u32 s0, s0, s15
	s_mul_i32 s5, s1, s21
	s_addc_u32 s15, s22, 0
	s_add_u32 s0, s0, s5
	s_addc_u32 s5, 0, s15
	v_add_co_u32 v9, s0, v9, s0
	s_delay_alu instid0(VALU_DEP_1) | instskip(SKIP_2) | instid1(SALU_CYCLE_1)
	s_cmp_lg_u32 s0, 0
	s_addc_u32 s5, s1, s5
	s_ashr_i32 s0, s13, 31
	s_add_u32 s22, s4, s0
	s_addc_u32 s23, s13, s0
	v_readfirstlane_b32 s13, v9
	s_mov_b32 s1, s0
	s_delay_alu instid0(SALU_CYCLE_1) | instskip(NEXT) | instid1(SALU_CYCLE_1)
	s_xor_b64 s[22:23], s[22:23], s[0:1]
	s_mul_i32 s15, s22, s5
	s_delay_alu instid0(VALU_DEP_1)
	s_mul_hi_u32 s21, s22, s13
	s_mul_hi_u32 s24, s22, s5
	s_add_u32 s15, s21, s15
	s_mul_i32 s25, s23, s13
	s_addc_u32 s21, 0, s24
	s_mul_hi_u32 s13, s23, s13
	s_mul_hi_u32 s24, s23, s5
	s_add_u32 s15, s15, s25
	s_addc_u32 s13, s21, s13
	s_mul_i32 s5, s23, s5
	s_addc_u32 s15, s24, 0
	s_add_u32 s5, s13, s5
	s_addc_u32 s13, 0, s15
	s_mul_i32 s21, s20, s5
	s_add_u32 s15, s5, 1
	v_sub_co_u32 v9, s21, s22, s21
	s_addc_u32 s22, s13, 0
	s_mul_i32 s25, s20, s13
	s_mul_hi_u32 s27, s20, s5
	s_delay_alu instid0(VALU_DEP_1)
	v_sub_co_u32 v10, s26, v9, s20
	s_add_u32 s24, s5, 2
	s_addc_u32 s28, s13, 0
	s_add_i32 s27, s27, s25
	s_cmp_lg_u32 s21, 0
	v_readfirstlane_b32 s21, v10
	s_subb_u32 s23, s23, s27
	s_cmp_lg_u32 s26, 0
	s_subb_u32 s25, s23, 0
	s_delay_alu instid0(VALU_DEP_1) | instskip(SKIP_4) | instid1(SALU_CYCLE_1)
	s_cmp_ge_u32 s21, s20
	s_cselect_b32 s21, -1, 0
	s_cmp_eq_u32 s25, 0
	v_readfirstlane_b32 s25, v9
	s_cselect_b32 s21, s21, -1
	s_cmp_lg_u32 s21, 0
	s_cselect_b32 s15, s24, s15
	s_cselect_b32 s21, s28, s22
	s_cmp_ge_u32 s25, s20
	s_cselect_b32 s22, -1, 0
	s_cmp_eq_u32 s23, 0
	s_cselect_b32 s22, s22, -1
	s_delay_alu instid0(SALU_CYCLE_1) | instskip(SKIP_4) | instid1(SALU_CYCLE_1)
	s_cmp_lg_u32 s22, 0
	s_cselect_b32 s23, s21, s13
	s_cselect_b32 s22, s15, s5
	s_mov_b32 s5, 0
	s_xor_b64 s[22:23], s[22:23], s[0:1]
	s_sub_u32 s0, s22, s0
.LBB12_11:                              ;   in Loop: Header=BB12_9 Depth=1
	s_and_not1_b32 vcc_lo, exec_lo, s5
	s_cbranch_vccnz .LBB12_13
; %bb.12:                               ;   in Loop: Header=BB12_9 Depth=1
	v_readfirstlane_b32 s0, v6
	s_delay_alu instid0(VALU_DEP_1) | instskip(NEXT) | instid1(SALU_CYCLE_1)
	s_mul_i32 s1, s6, s0
	s_mul_hi_u32 s1, s0, s1
	s_delay_alu instid0(SALU_CYCLE_1) | instskip(NEXT) | instid1(SALU_CYCLE_1)
	s_add_i32 s0, s0, s1
	s_mul_hi_u32 s0, s4, s0
	s_delay_alu instid0(SALU_CYCLE_1) | instskip(NEXT) | instid1(SALU_CYCLE_1)
	s_mul_i32 s1, s0, s20
	s_sub_i32 s1, s4, s1
	s_add_i32 s4, s0, 1
	s_sub_i32 s5, s1, s20
	s_cmp_ge_u32 s1, s20
	s_cselect_b32 s0, s4, s0
	s_cselect_b32 s1, s5, s1
	s_add_i32 s4, s0, 1
	s_cmp_ge_u32 s1, s20
	s_cselect_b32 s0, s4, s0
.LBB12_13:                              ;   in Loop: Header=BB12_9 Depth=1
	s_delay_alu instid0(SALU_CYCLE_1)
	s_cmp_lg_u32 s16, s0
	s_cbranch_scc0 .LBB12_17
; %bb.14:                               ;   in Loop: Header=BB12_9 Depth=1
	s_add_i32 s1, s14, s20
	s_mov_b32 s5, s12
	s_lshl_b32 s1, s1, 5
	s_mov_b32 s15, s16
	s_add_i32 s4, s1, s17
	s_mul_hi_u32 s1, s0, s8
	s_lshl_b64 s[4:5], s[4:5], 3
	s_delay_alu instid0(SALU_CYCLE_1) | instskip(SKIP_2) | instid1(SALU_CYCLE_1)
	s_add_u32 s4, s2, s4
	s_addc_u32 s5, s3, s5
	s_add_i32 s1, s1, s0
	s_lshr_b32 s1, s1, s9
	s_delay_alu instid0(SALU_CYCLE_1) | instskip(NEXT) | instid1(SALU_CYCLE_1)
	s_mul_i32 s13, s1, s10
	s_cmp_eq_u32 s13, s0
	s_cselect_b32 s13, -1, 0
	s_cmp_lt_u32 s1, s11
	s_cselect_b32 s1, -1, 0
	s_delay_alu instid0(SALU_CYCLE_1)
	s_or_b32 s1, s1, s13
	s_mov_b32 s13, -1
	s_and_b32 vcc_lo, exec_lo, s1
	s_mov_b32 s1, s14
	s_cbranch_vccnz .LBB12_16
; %bb.15:                               ;   in Loop: Header=BB12_9 Depth=1
	s_add_i32 s1, s14, -1
	s_mov_b32 s13, 0
	s_mov_b32 s15, s0
.LBB12_16:                              ;   in Loop: Header=BB12_9 Depth=1
	v_lshl_add_u32 v9, s14, 12, v0
	s_load_b64 s[4:5], s[4:5], 0x0
	s_delay_alu instid0(VALU_DEP_1) | instskip(NEXT) | instid1(VALU_DEP_1)
	v_ashrrev_i32_e32 v10, 31, v9
	v_lshlrev_b64 v[9:10], 2, v[9:10]
	s_delay_alu instid0(VALU_DEP_1) | instskip(NEXT) | instid1(VALU_DEP_2)
	v_add_co_u32 v9, vcc_lo, s18, v9
	v_add_co_ci_u32_e32 v10, vcc_lo, s19, v10, vcc_lo
	s_waitcnt lgkmcnt(0)
	v_max_f32_e64 v11, s4, s4
	global_load_b32 v10, v[9:10], off
	v_max_f32_e32 v9, v8, v8
	s_delay_alu instid0(VALU_DEP_1) | instskip(NEXT) | instid1(VALU_DEP_1)
	v_max_f32_e32 v9, v9, v11
	v_sub_f32_e32 v12, v8, v9
	s_delay_alu instid0(VALU_DEP_1) | instskip(NEXT) | instid1(VALU_DEP_1)
	v_dual_mul_f32 v14, 0x3fb8aa3b, v12 :: v_dual_sub_f32 v11, s4, v9
	v_rndne_f32_e32 v18, v14
	s_delay_alu instid0(VALU_DEP_2) | instskip(SKIP_2) | instid1(VALU_DEP_4)
	v_mul_f32_e32 v13, 0x3fb8aa3b, v11
	v_fma_f32 v17, 0x3fb8aa3b, v12, -v14
	v_cmp_ngt_f32_e32 vcc_lo, 0xc2ce8ed0, v11
	v_sub_f32_e32 v14, v14, v18
	s_delay_alu instid0(VALU_DEP_4) | instskip(SKIP_2) | instid1(VALU_DEP_3)
	v_fma_f32 v15, 0x3fb8aa3b, v11, -v13
	v_rndne_f32_e32 v16, v13
	v_fmac_f32_e32 v17, 0x32a5705f, v12
	v_fmac_f32_e32 v15, 0x32a5705f, v11
	s_delay_alu instid0(VALU_DEP_2) | instskip(NEXT) | instid1(VALU_DEP_1)
	v_dual_sub_f32 v13, v13, v16 :: v_dual_add_f32 v14, v14, v17
	v_add_f32_e32 v13, v13, v15
	s_delay_alu instid0(VALU_DEP_2) | instskip(SKIP_2) | instid1(VALU_DEP_3)
	v_exp_f32_e32 v14, v14
	v_cvt_i32_f32_e32 v15, v16
	v_cvt_i32_f32_e32 v16, v18
	v_exp_f32_e32 v13, v13
	s_waitcnt_depctr 0xfff
	v_ldexp_f32 v14, v14, v16
	v_ldexp_f32 v13, v13, v15
	s_delay_alu instid0(VALU_DEP_1) | instskip(SKIP_1) | instid1(VALU_DEP_4)
	v_cndmask_b32_e32 v13, 0, v13, vcc_lo
	v_cmp_ngt_f32_e32 vcc_lo, 0xc2ce8ed0, v12
	v_cndmask_b32_e32 v14, 0, v14, vcc_lo
	v_cmp_nlt_f32_e32 vcc_lo, 0x42b17218, v11
	s_delay_alu instid0(VALU_DEP_4) | instskip(SKIP_1) | instid1(VALU_DEP_4)
	v_cndmask_b32_e32 v13, 0x7f800000, v13, vcc_lo
	v_cmp_nlt_f32_e32 vcc_lo, 0x42b17218, v12
	v_cndmask_b32_e32 v14, 0x7f800000, v14, vcc_lo
	v_cmp_le_f32_e32 vcc_lo, 0xc1a00000, v11
	s_delay_alu instid0(VALU_DEP_4) | instskip(SKIP_1) | instid1(VALU_DEP_4)
	v_cndmask_b32_e32 v11, 0, v13, vcc_lo
	v_cmp_le_f32_e32 vcc_lo, 0xc1a00000, v12
	v_cndmask_b32_e32 v12, 0, v14, vcc_lo
	s_waitcnt vmcnt(0)
	s_delay_alu instid0(VALU_DEP_3) | instskip(NEXT) | instid1(VALU_DEP_1)
	v_mul_f32_e32 v10, v10, v11
	v_dual_mul_f32 v11, s5, v11 :: v_dual_fmac_f32 v10, v3, v12
	s_delay_alu instid0(VALU_DEP_1)
	v_fmac_f32_e32 v11, v7, v12
	s_cbranch_execz .LBB12_18
	s_branch .LBB12_19
.LBB12_17:                              ;   in Loop: Header=BB12_9 Depth=1
                                        ; implicit-def: $sgpr13
                                        ; implicit-def: $vgpr10
                                        ; implicit-def: $vgpr9
                                        ; implicit-def: $vgpr11
                                        ; implicit-def: $sgpr1
                                        ; implicit-def: $sgpr15
.LBB12_18:                              ;   in Loop: Header=BB12_9 Depth=1
	v_mov_b32_e32 v11, v7
	s_waitcnt vmcnt(0)
	v_dual_mov_b32 v9, v8 :: v_dual_mov_b32 v10, v3
	s_add_i32 s1, s14, -1
	s_mov_b32 s13, 0
	s_mov_b32 s15, s16
.LBB12_19:                              ;   in Loop: Header=BB12_9 Depth=1
	s_and_not1_b32 vcc_lo, exec_lo, s13
	s_cbranch_vccz .LBB12_23
; %bb.20:                               ;   in Loop: Header=BB12_9 Depth=1
	v_dual_mov_b32 v7, v11 :: v_dual_mov_b32 v8, v9
	s_waitcnt vmcnt(0)
	v_mov_b32_e32 v3, v10
	s_mov_b32 s16, s15
	s_mov_b32 s14, s1
	s_branch .LBB12_9
.LBB12_21:
                                        ; implicit-def: $sgpr16_sgpr17
	s_load_b128 s[8:11], s[0:1], 0x44
	s_branch .LBB12_2
.LBB12_22:
                                        ; implicit-def: $sgpr18_sgpr19
	s_branch .LBB12_5
.LBB12_23:
	v_div_scale_f32 v0, null, v11, v11, v10
	s_waitcnt vmcnt(0)
	s_delay_alu instid0(VALU_DEP_1) | instskip(SKIP_2) | instid1(VALU_DEP_1)
	v_rcp_f32_e32 v3, v0
	s_waitcnt_depctr 0xfff
	v_fma_f32 v4, -v0, v3, 1.0
	v_fmac_f32_e32 v3, v4, v3
	v_div_scale_f32 v4, vcc_lo, v10, v11, v10
	s_delay_alu instid0(VALU_DEP_1) | instskip(NEXT) | instid1(VALU_DEP_1)
	v_mul_f32_e32 v5, v4, v3
	v_fma_f32 v6, -v0, v5, v4
	s_delay_alu instid0(VALU_DEP_1) | instskip(NEXT) | instid1(VALU_DEP_1)
	v_fmac_f32_e32 v5, v6, v3
	v_fma_f32 v0, -v0, v5, v4
	s_delay_alu instid0(VALU_DEP_1) | instskip(NEXT) | instid1(VALU_DEP_1)
	v_div_fmas_f32 v0, v0, v3, v5
	v_div_fixup_f32 v0, v0, v11, v10
	global_store_b32 v[1:2], v0, off
.LBB12_24:
	s_nop 0
	s_sendmsg sendmsg(MSG_DEALLOC_VGPRS)
	s_endpgm
	.section	.rodata,"a",@progbits
	.p2align	6, 0x0
	.amdhsa_kernel _ZL33flash_attn_stream_k_fixup_generalILi128ELi4ELi8EEvPfPK15HIP_vector_typeIfLj2EEiiiiS1_IjLj3EES5_S5_S5_
		.amdhsa_group_segment_fixed_size 0
		.amdhsa_private_segment_fixed_size 0
		.amdhsa_kernarg_size 336
		.amdhsa_user_sgpr_count 13
		.amdhsa_user_sgpr_dispatch_ptr 0
		.amdhsa_user_sgpr_queue_ptr 0
		.amdhsa_user_sgpr_kernarg_segment_ptr 1
		.amdhsa_user_sgpr_dispatch_id 0
		.amdhsa_user_sgpr_private_segment_size 0
		.amdhsa_wavefront_size32 1
		.amdhsa_uses_dynamic_stack 0
		.amdhsa_enable_private_segment 0
		.amdhsa_system_sgpr_workgroup_id_x 1
		.amdhsa_system_sgpr_workgroup_id_y 1
		.amdhsa_system_sgpr_workgroup_id_z 1
		.amdhsa_system_sgpr_workgroup_info 0
		.amdhsa_system_vgpr_workitem_id 0
		.amdhsa_next_free_vgpr 19
		.amdhsa_next_free_sgpr 32
		.amdhsa_reserve_vcc 1
		.amdhsa_float_round_mode_32 0
		.amdhsa_float_round_mode_16_64 0
		.amdhsa_float_denorm_mode_32 3
		.amdhsa_float_denorm_mode_16_64 3
		.amdhsa_dx10_clamp 1
		.amdhsa_ieee_mode 1
		.amdhsa_fp16_overflow 0
		.amdhsa_workgroup_processor_mode 1
		.amdhsa_memory_ordered 1
		.amdhsa_forward_progress 0
		.amdhsa_shared_vgpr_count 0
		.amdhsa_exception_fp_ieee_invalid_op 0
		.amdhsa_exception_fp_denorm_src 0
		.amdhsa_exception_fp_ieee_div_zero 0
		.amdhsa_exception_fp_ieee_overflow 0
		.amdhsa_exception_fp_ieee_underflow 0
		.amdhsa_exception_fp_ieee_inexact 0
		.amdhsa_exception_int_div_zero 0
	.end_amdhsa_kernel
	.section	.text._ZL33flash_attn_stream_k_fixup_generalILi128ELi4ELi8EEvPfPK15HIP_vector_typeIfLj2EEiiiiS1_IjLj3EES5_S5_S5_,"axG",@progbits,_ZL33flash_attn_stream_k_fixup_generalILi128ELi4ELi8EEvPfPK15HIP_vector_typeIfLj2EEiiiiS1_IjLj3EES5_S5_S5_,comdat
.Lfunc_end12:
	.size	_ZL33flash_attn_stream_k_fixup_generalILi128ELi4ELi8EEvPfPK15HIP_vector_typeIfLj2EEiiiiS1_IjLj3EES5_S5_S5_, .Lfunc_end12-_ZL33flash_attn_stream_k_fixup_generalILi128ELi4ELi8EEvPfPK15HIP_vector_typeIfLj2EEiiiiS1_IjLj3EES5_S5_S5_
                                        ; -- End function
	.section	.AMDGPU.csdata,"",@progbits
; Kernel info:
; codeLenInByte = 3224
; NumSgprs: 34
; NumVgprs: 19
; ScratchSize: 0
; MemoryBound: 0
; FloatMode: 240
; IeeeMode: 1
; LDSByteSize: 0 bytes/workgroup (compile time only)
; SGPRBlocks: 4
; VGPRBlocks: 2
; NumSGPRsForWavesPerEU: 34
; NumVGPRsForWavesPerEU: 19
; Occupancy: 16
; WaveLimiterHint : 0
; COMPUTE_PGM_RSRC2:SCRATCH_EN: 0
; COMPUTE_PGM_RSRC2:USER_SGPR: 13
; COMPUTE_PGM_RSRC2:TRAP_HANDLER: 0
; COMPUTE_PGM_RSRC2:TGID_X_EN: 1
; COMPUTE_PGM_RSRC2:TGID_Y_EN: 1
; COMPUTE_PGM_RSRC2:TGID_Z_EN: 1
; COMPUTE_PGM_RSRC2:TIDIG_COMP_CNT: 0
	.section	.text._ZL15flash_attn_tileILi192ELi128ELi2ELi8ELb0EEvPKcS1_S1_S1_S1_PKiPfP15HIP_vector_typeIfLj2EEffffjfiS5_IjLj3EEiiiiiiiiiiiliiliiiiil,"axG",@progbits,_ZL15flash_attn_tileILi192ELi128ELi2ELi8ELb0EEvPKcS1_S1_S1_S1_PKiPfP15HIP_vector_typeIfLj2EEffffjfiS5_IjLj3EEiiiiiiiiiiiliiliiiiil,comdat
	.globl	_ZL15flash_attn_tileILi192ELi128ELi2ELi8ELb0EEvPKcS1_S1_S1_S1_PKiPfP15HIP_vector_typeIfLj2EEffffjfiS5_IjLj3EEiiiiiiiiiiiliiliiiiil ; -- Begin function _ZL15flash_attn_tileILi192ELi128ELi2ELi8ELb0EEvPKcS1_S1_S1_S1_PKiPfP15HIP_vector_typeIfLj2EEffffjfiS5_IjLj3EEiiiiiiiiiiiliiliiiiil
	.p2align	8
	.type	_ZL15flash_attn_tileILi192ELi128ELi2ELi8ELb0EEvPKcS1_S1_S1_S1_PKiPfP15HIP_vector_typeIfLj2EEffffjfiS5_IjLj3EEiiiiiiiiiiiliiliiiiil,@function
_ZL15flash_attn_tileILi192ELi128ELi2ELi8ELb0EEvPKcS1_S1_S1_S1_PKiPfP15HIP_vector_typeIfLj2EEffffjfiS5_IjLj3EEiiiiiiiiiiiliiliiiiil: ; @_ZL15flash_attn_tileILi192ELi128ELi2ELi8ELb0EEvPKcS1_S1_S1_S1_PKiPfP15HIP_vector_typeIfLj2EEffffjfiS5_IjLj3EEiiiiiiiiiiiliiliiiiil
; %bb.0:
	s_clause 0x1
	s_load_b128 s[4:7], s[0:1], 0x5c
	s_load_b64 s[34:35], s[0:1], 0x80
	s_mov_b64 s[36:37], 0
	s_waitcnt lgkmcnt(0)
	s_ashr_i32 s2, s7, 31
	s_delay_alu instid0(SALU_CYCLE_1) | instskip(NEXT) | instid1(SALU_CYCLE_1)
	s_lshr_b32 s2, s2, 29
	s_add_i32 s2, s7, s2
	s_delay_alu instid0(SALU_CYCLE_1) | instskip(NEXT) | instid1(SALU_CYCLE_1)
	s_ashr_i32 s2, s2, 3
	v_cvt_f32_u32_e32 v1, s2
	s_sub_i32 s8, 0, s2
	s_delay_alu instid0(VALU_DEP_1) | instskip(SKIP_2) | instid1(VALU_DEP_1)
	v_rcp_iflag_f32_e32 v1, v1
	s_waitcnt_depctr 0xfff
	v_mul_f32_e32 v1, 0x4f7ffffe, v1
	v_cvt_u32_f32_e32 v1, v1
	s_delay_alu instid0(VALU_DEP_1) | instskip(NEXT) | instid1(VALU_DEP_1)
	v_readfirstlane_b32 s3, v1
	s_mul_i32 s8, s8, s3
	s_delay_alu instid0(SALU_CYCLE_1) | instskip(NEXT) | instid1(SALU_CYCLE_1)
	s_mul_hi_u32 s8, s3, s8
	s_add_i32 s3, s3, s8
	s_delay_alu instid0(SALU_CYCLE_1) | instskip(NEXT) | instid1(SALU_CYCLE_1)
	s_mul_hi_u32 s3, s15, s3
	s_mul_i32 s8, s3, s2
	s_add_i32 s9, s3, 1
	s_sub_i32 s8, s15, s8
	s_delay_alu instid0(SALU_CYCLE_1)
	s_sub_i32 s10, s8, s2
	s_cmp_ge_u32 s8, s2
	s_cselect_b32 s3, s9, s3
	s_cselect_b32 s8, s10, s8
	s_add_i32 s9, s3, 1
	s_cmp_ge_u32 s8, s2
	s_cselect_b32 s12, s9, s3
	s_abs_i32 s2, s35
	s_abs_i32 s11, s7
	v_cvt_f32_u32_e32 v1, s2
	s_sub_i32 s8, 0, s2
	s_lshl_b32 s9, s15, 3
	s_mul_i32 s10, s12, s7
	s_delay_alu instid0(VALU_DEP_1) | instskip(SKIP_3) | instid1(VALU_DEP_1)
	v_rcp_iflag_f32_e32 v1, v1
	s_sub_i32 s15, s9, s10
	s_waitcnt_depctr 0xfff
	v_mul_f32_e32 v1, 0x4f7ffffe, v1
	v_cvt_u32_f32_e32 v1, v1
	s_delay_alu instid0(VALU_DEP_1) | instskip(NEXT) | instid1(VALU_DEP_1)
	v_readfirstlane_b32 s3, v1
	s_mul_i32 s8, s8, s3
	s_delay_alu instid0(SALU_CYCLE_1) | instskip(NEXT) | instid1(SALU_CYCLE_1)
	s_mul_hi_u32 s8, s3, s8
	s_add_i32 s3, s3, s8
	s_xor_b32 s8, s7, s35
	s_mul_hi_u32 s3, s11, s3
	s_ashr_i32 s8, s8, 31
	s_mul_i32 s9, s3, s2
	s_add_i32 s10, s3, 1
	s_sub_i32 s9, s11, s9
	s_delay_alu instid0(SALU_CYCLE_1)
	s_sub_i32 s11, s9, s2
	s_cmp_ge_u32 s9, s2
	s_cselect_b32 s3, s10, s3
	s_cselect_b32 s9, s11, s9
	s_add_i32 s10, s3, 1
	s_cmp_ge_u32 s9, s2
	s_cselect_b32 s2, s10, s3
	s_delay_alu instid0(SALU_CYCLE_1) | instskip(NEXT) | instid1(SALU_CYCLE_1)
	s_xor_b32 s2, s2, s8
	s_sub_i32 s35, s2, s8
	s_clause 0x1
	s_load_b512 s[16:31], s[0:1], 0x0
	s_load_b64 s[2:3], s[0:1], 0xb8
	s_abs_i32 s33, s35
	s_delay_alu instid0(SALU_CYCLE_1) | instskip(NEXT) | instid1(VALU_DEP_1)
	v_cvt_f32_u32_e32 v1, s33
	v_rcp_iflag_f32_e32 v1, v1
	s_waitcnt_depctr 0xfff
	v_mul_f32_e32 v1, 0x4f7ffffe, v1
	s_waitcnt lgkmcnt(0)
	s_cmp_eq_u64 s[22:23], 0
	s_delay_alu instid0(VALU_DEP_1) | instskip(NEXT) | instid1(VALU_DEP_1)
	v_cvt_u32_f32_e32 v1, v1
	v_readfirstlane_b32 s38, v1
	s_cbranch_scc1 .LBB13_2
; %bb.1:
	s_abs_i32 s2, s2
	s_abs_i32 s10, s12
	v_cvt_f32_u32_e32 v1, s2
	s_sub_i32 s9, 0, s2
	s_delay_alu instid0(VALU_DEP_1) | instskip(SKIP_2) | instid1(VALU_DEP_1)
	v_rcp_iflag_f32_e32 v1, v1
	s_waitcnt_depctr 0xfff
	v_mul_f32_e32 v1, 0x4f7ffffe, v1
	v_cvt_u32_f32_e32 v1, v1
	s_delay_alu instid0(VALU_DEP_1) | instskip(NEXT) | instid1(VALU_DEP_1)
	v_readfirstlane_b32 s8, v1
	s_mul_i32 s9, s9, s8
	s_delay_alu instid0(SALU_CYCLE_1) | instskip(NEXT) | instid1(SALU_CYCLE_1)
	s_mul_hi_u32 s9, s8, s9
	s_add_i32 s11, s8, s9
	s_load_b64 s[8:9], s[0:1], 0xc8
	s_mul_hi_u32 s11, s10, s11
	s_delay_alu instid0(SALU_CYCLE_1) | instskip(NEXT) | instid1(SALU_CYCLE_1)
	s_mul_i32 s11, s11, s2
	s_sub_i32 s10, s10, s11
	s_ashr_i32 s11, s12, 31
	s_sub_i32 s36, s10, s2
	s_cmp_ge_u32 s10, s2
	s_cselect_b32 s10, s36, s10
	s_delay_alu instid0(SALU_CYCLE_1) | instskip(SKIP_2) | instid1(SALU_CYCLE_1)
	s_sub_i32 s36, s10, s2
	s_cmp_ge_u32 s10, s2
	s_cselect_b32 s2, s36, s10
	s_xor_b32 s2, s2, s11
	s_delay_alu instid0(SALU_CYCLE_1)
	s_sub_i32 s2, s2, s11
	s_waitcnt lgkmcnt(0)
	s_mul_i32 s9, s2, s9
	s_mul_hi_u32 s10, s2, s8
	s_ashr_i32 s11, s2, 31
	s_add_i32 s9, s10, s9
	s_mul_i32 s11, s11, s8
	s_mul_i32 s2, s2, s8
	s_add_i32 s9, s9, s11
	s_add_u32 s36, s22, s2
	s_addc_u32 s37, s23, s9
.LBB13_2:
	v_bfe_u32 v4, v0, 10, 10
	s_load_b128 s[8:11], s[0:1], 0x70
	v_and_b32_e32 v0, 0x3ff, v0
	s_delay_alu instid0(VALU_DEP_2) | instskip(SKIP_1) | instid1(VALU_DEP_3)
	v_lshrrev_b32_e32 v1, 2, v4
	v_lshlrev_b32_e32 v5, 1, v4
	v_lshlrev_b32_e32 v31, 1, v0
	v_mul_u32_u24_e32 v16, 0xc0, v4
	s_delay_alu instid0(VALU_DEP_4) | instskip(NEXT) | instid1(VALU_DEP_1)
	v_lshl_add_u32 v1, s13, 1, v1
	v_mul_hi_u32 v2, s4, v1
	s_waitcnt lgkmcnt(0)
	s_mul_i32 s2, s12, s10
	s_mul_i32 s4, s15, s9
	s_delay_alu instid0(VALU_DEP_1) | instskip(NEXT) | instid1(VALU_DEP_1)
	v_add_nc_u32_e32 v2, v1, v2
	v_lshrrev_b32_e32 v2, s5, v2
	s_ashr_i32 s5, s2, 31
	s_add_u32 s2, s16, s2
	s_addc_u32 s5, s17, s5
	s_ashr_i32 s10, s4, 31
	v_mul_lo_u32 v2, v2, s6
	s_add_u32 s2, s2, s4
	s_addc_u32 s4, s5, s10
	s_ashr_i32 s10, s8, 31
	s_ashr_i32 s5, s9, 31
	v_alignbit_b32 v7, s10, s8, 2
	s_lshr_b32 s8, s10, 2
	s_delay_alu instid0(VALU_DEP_2) | instskip(NEXT) | instid1(VALU_DEP_1)
	v_sub_nc_u32_e32 v6, v1, v2
	v_mad_u64_u32 v[2:3], null, v7, v6, 0
	v_alignbit_b32 v7, s5, s9, 2
	s_delay_alu instid0(VALU_DEP_2) | instskip(SKIP_2) | instid1(VALU_DEP_2)
	v_mad_u64_u32 v[11:12], null, s8, v6, v[3:4]
	v_and_b32_e32 v8, 6, v5
	s_lshr_b32 s8, s5, 2
	v_mov_b32_e32 v3, v11
	s_delay_alu instid0(VALU_DEP_2) | instskip(NEXT) | instid1(VALU_DEP_2)
	v_mad_u64_u32 v[9:10], null, v7, v8, 0
	v_lshlrev_b64 v[2:3], 2, v[2:3]
	s_delay_alu instid0(VALU_DEP_2) | instskip(NEXT) | instid1(VALU_DEP_1)
	v_mov_b32_e32 v7, v10
	v_mad_u64_u32 v[10:11], null, s8, v8, v[7:8]
	v_lshlrev_b32_e32 v7, 4, v0
	s_delay_alu instid0(VALU_DEP_4) | instskip(SKIP_2) | instid1(VALU_DEP_4)
	v_add_co_u32 v11, vcc_lo, s2, v2
	v_add_co_ci_u32_e32 v12, vcc_lo, s4, v3, vcc_lo
	s_load_b32 s8, s[0:1], 0x40
	v_lshlrev_b64 v[2:3], 2, v[9:10]
	s_delay_alu instid0(VALU_DEP_3) | instskip(NEXT) | instid1(VALU_DEP_3)
	v_add_co_u32 v7, vcc_lo, v11, v7
	v_add_co_ci_u32_e32 v9, vcc_lo, 0, v12, vcc_lo
	s_mov_b32 s4, s9
	s_delay_alu instid0(VALU_DEP_2) | instskip(NEXT) | instid1(VALU_DEP_2)
	v_add_co_u32 v2, vcc_lo, v7, v2
	v_add_co_ci_u32_e32 v3, vcc_lo, v9, v3, vcc_lo
	v_cmp_gt_u32_e32 vcc_lo, 16, v0
	s_lshr_b64 s[4:5], s[4:5], 2
	global_load_b128 v[10:13], v[2:3], off
	s_waitcnt vmcnt(0) lgkmcnt(0)
	v_fma_mixlo_f16 v15, v12, s8, 0
	v_fma_mixlo_f16 v14, v10, s8, 0
	v_add_lshl_u32 v10, v16, v31, 2
	s_delay_alu instid0(VALU_DEP_3) | instskip(NEXT) | instid1(VALU_DEP_3)
	v_fma_mixhi_f16 v15, v13, s8, 0
	v_fma_mixhi_f16 v14, v11, s8, 0
	ds_store_b64 v10, v[14:15]
	s_and_saveexec_b32 s2, vcc_lo
	s_cbranch_execz .LBB13_4
; %bb.3:
	global_load_b128 v[11:14], v[2:3], off offset:512
	s_waitcnt vmcnt(0)
	v_fma_mixlo_f16 v3, v13, s8, 0
	v_fma_mixlo_f16 v2, v11, s8, 0
	s_delay_alu instid0(VALU_DEP_2) | instskip(NEXT) | instid1(VALU_DEP_2)
	v_fma_mixhi_f16 v3, v14, s8, 0
	v_fma_mixhi_f16 v2, v12, s8, 0
	ds_store_b64 v10, v[2:3] offset:256
.LBB13_4:
	s_or_b32 exec_lo, exec_lo, s2
	v_or_b32_e32 v13, 1, v5
	s_delay_alu instid0(VALU_DEP_1) | instskip(NEXT) | instid1(VALU_DEP_1)
	v_and_b32_e32 v12, 7, v13
	v_mad_u64_u32 v[2:3], null, s4, v12, 0
	s_delay_alu instid0(VALU_DEP_1) | instskip(NEXT) | instid1(VALU_DEP_1)
	v_mad_u64_u32 v[10:11], null, s5, v12, v[3:4]
	v_mov_b32_e32 v3, v10
	s_delay_alu instid0(VALU_DEP_1) | instskip(NEXT) | instid1(VALU_DEP_1)
	v_lshlrev_b64 v[2:3], 2, v[2:3]
	v_add_co_u32 v2, s2, v7, v2
	s_delay_alu instid0(VALU_DEP_1)
	v_add_co_ci_u32_e64 v3, s2, v9, v3, s2
	v_mul_u32_u24_e32 v7, 0x60, v13
	global_load_b128 v[9:12], v[2:3], off
	v_add_lshl_u32 v7, v7, v31, 2
	s_waitcnt vmcnt(0)
	v_fma_mixlo_f16 v14, v11, s8, 0
	v_fma_mixlo_f16 v13, v9, s8, 0
	s_delay_alu instid0(VALU_DEP_2) | instskip(NEXT) | instid1(VALU_DEP_2)
	v_fma_mixhi_f16 v14, v12, s8, 0
	v_fma_mixhi_f16 v13, v10, s8, 0
	ds_store_b64 v7, v[13:14]
	s_and_saveexec_b32 s2, vcc_lo
	s_cbranch_execz .LBB13_6
; %bb.5:
	global_load_b128 v[9:12], v[2:3], off offset:512
	s_waitcnt vmcnt(0)
	v_fma_mixlo_f16 v3, v11, s8, 0
	v_fma_mixlo_f16 v2, v9, s8, 0
	s_delay_alu instid0(VALU_DEP_2) | instskip(NEXT) | instid1(VALU_DEP_2)
	v_fma_mixhi_f16 v3, v12, s8, 0
	v_fma_mixhi_f16 v2, v10, s8, 0
	ds_store_b64 v7, v[2:3] offset:256
.LBB13_6:
	s_or_b32 exec_lo, exec_lo, s2
	s_cmp_eq_u64 s[26:27], 0
	s_waitcnt lgkmcnt(0)
	s_barrier
	buffer_gl0_inv
	s_cbranch_scc1 .LBB13_8
; %bb.7:
	s_load_b32 s2, s[0:1], 0xd0
	s_mov_b32 s5, 0
	s_waitcnt lgkmcnt(0)
	s_mul_i32 s2, s2, s12
	s_delay_alu instid0(SALU_CYCLE_1) | instskip(NEXT) | instid1(SALU_CYCLE_1)
	s_add_i32 s4, s2, s13
	s_lshl_b64 s[4:5], s[4:5], 2
	s_delay_alu instid0(SALU_CYCLE_1)
	s_add_u32 s4, s26, s4
	s_addc_u32 s5, s27, s5
	s_load_b32 s34, s[4:5], 0x0
.LBB13_8:
	v_mbcnt_lo_u32_b32 v7, -1, 0
	s_lshl_b32 s13, s14, 5
	s_waitcnt lgkmcnt(0)
	s_cmp_lt_i32 s13, s34
	s_cbranch_scc1 .LBB13_10
; %bb.9:
	v_mbcnt_lo_u32_b32 v21, -1, 0
	v_mov_b32_e32 v9, 32
	s_mov_b32 s2, 0
	s_mov_b32 s4, 0xfeffffff
	s_delay_alu instid0(VALU_DEP_2)
	v_xor_b32_e32 v19, 16, v21
	v_xor_b32_e32 v17, 8, v21
	;; [unrolled: 1-line block ×5, first 2 shown]
	s_branch .LBB13_11
.LBB13_10:
	s_mov_b32 s2, -1
                                        ; implicit-def: $sgpr4
                                        ; implicit-def: $vgpr21
                                        ; implicit-def: $vgpr9
                                        ; implicit-def: $vgpr19
                                        ; implicit-def: $vgpr17
                                        ; implicit-def: $vgpr16
                                        ; implicit-def: $vgpr14
                                        ; implicit-def: $vgpr13
.LBB13_11:
	s_delay_alu instid0(SALU_CYCLE_1) | instskip(SKIP_3) | instid1(VALU_DEP_4)
	v_cndmask_b32_e64 v2, 0, 1, s2
	v_dual_mov_b32 v3, s4 :: v_dual_lshlrev_b32 v10, 2, v0
	v_mov_b32_e32 v33, s2
	v_dual_mov_b32 v15, s2 :: v_dual_mov_b32 v20, s2
	v_cmp_ne_u32_e32 vcc_lo, 1, v2
	v_mov_b32_e32 v2, s4
	v_dual_mov_b32 v18, s2 :: v_dual_mov_b32 v11, s2
	v_mov_b32_e32 v12, s2
	s_cbranch_vccnz .LBB13_15
; %bb.12:
	s_clause 0x1
	s_load_b128 s[8:11], s[0:1], 0x98
	s_load_b64 s[4:5], s[0:1], 0x8c
	s_sub_i32 s2, 0, s33
	v_lshrrev_b32_e32 v2, 3, v0
	s_mul_i32 s2, s2, s38
	s_abs_i32 s22, s15
	s_mul_hi_u32 s2, s38, s2
	s_ashr_i32 s26, s35, 31
	s_add_i32 s38, s38, s2
	s_ashr_i32 s2, s3, 1
	s_ashr_i32 s35, s12, 31
	s_mul_hi_u32 s27, s22, s38
	v_lshl_add_u32 v9, v4, 2, v2
	s_ashr_i32 s23, s15, 31
	s_mul_i32 s38, s27, s33
	s_load_b64 s[16:17], s[0:1], 0xa8
	v_lshrrev_b32_e32 v11, 4, v0
	v_and_b32_e32 v12, 28, v10
	v_lshl_add_u32 v26, v4, 7, 0x2a00
	v_mul_u32_u24_e32 v25, 0x300, v4
	s_waitcnt lgkmcnt(0)
	s_ashr_i32 s3, s10, 2
	s_ashr_i32 s10, s4, 2
	s_mul_i32 s4, s12, s9
	s_mul_hi_u32 s9, s12, s8
	s_mul_i32 s39, s35, s8
	s_add_i32 s4, s9, s4
	s_mul_i32 s8, s12, s8
	s_add_i32 s4, s4, s39
	s_add_u32 s8, s18, s8
	s_addc_u32 s4, s19, s4
	s_sub_i32 s18, s22, s38
	s_xor_b32 s9, s23, s26
	s_add_i32 s19, s27, 1
	s_sub_i32 s22, s18, s33
	v_mul_lo_u32 v2, s10, v9
	s_cmp_ge_u32 s18, s33
	v_add_nc_u32_e32 v13, v5, v11
	s_cselect_b32 s19, s19, s27
	s_cselect_b32 s18, s22, s18
	s_add_i32 s22, s19, 1
	s_cmp_ge_u32 s18, s33
	v_mul_lo_u32 v11, s3, v13
	s_cselect_b32 s18, s22, s19
	v_ashrrev_i32_e32 v3, 31, v2
	s_xor_b32 s18, s18, s9
	v_mul_u32_u24_e32 v5, 0x90, v9
	s_sub_i32 s9, s18, s9
	v_dual_mov_b32 v20, 0 :: v_dual_lshlrev_b32 v9, 2, v12
	v_lshlrev_b64 v[2:3], 2, v[2:3]
	s_mul_i32 s5, s9, s5
	v_ashrrev_i32_e32 v12, 31, v11
	s_ashr_i32 s18, s5, 31
	s_add_u32 s5, s8, s5
	s_addc_u32 s4, s4, s18
	v_add_co_u32 v2, vcc_lo, s5, v2
	v_add_co_ci_u32_e32 v3, vcc_lo, s4, v3, vcc_lo
	s_mul_i32 s17, s12, s17
	s_delay_alu instid0(VALU_DEP_2)
	v_add_co_u32 v22, vcc_lo, v2, v9
	v_and_b32_e32 v2, 60, v10
	s_mul_hi_u32 s19, s12, s16
	s_mul_i32 s35, s35, s16
	s_add_i32 s8, s19, s17
	s_mul_i32 s16, s12, s16
	v_add3_u32 v21, v5, v9, 0x1800
	v_add_co_ci_u32_e32 v23, vcc_lo, 0, v3, vcc_lo
	v_lshlrev_b32_e32 v9, 2, v2
	v_lshlrev_b64 v[2:3], 2, v[11:12]
	v_mov_b32_e32 v12, 0
	s_add_i32 s8, s8, s35
	s_mul_i32 s9, s9, s11
	s_add_u32 s16, s20, s16
	s_addc_u32 s8, s21, s8
	s_ashr_i32 s11, s9, 31
	s_add_u32 s9, s16, s9
	s_addc_u32 s8, s8, s11
	v_add_co_u32 v2, vcc_lo, s9, v2
	v_mad_u64_u32 v[4:5], null, v6, s2, v[0:1]
	v_add_co_ci_u32_e32 v3, vcc_lo, s8, v3, vcc_lo
	v_lshl_add_u32 v27, v31, 1, v26
	s_delay_alu instid0(VALU_DEP_4)
	v_add_co_u32 v29, vcc_lo, v2, v9
	v_lshl_add_u32 v31, v31, 2, 0x1800
	v_mov_b32_e32 v2, 0xfeffffff
	v_lshl_or_b32 v5, v13, 8, v9
	s_movk_i32 s11, 0x1800
	v_add_co_ci_u32_e32 v30, vcc_lo, 0, v3, vcc_lo
	v_mad_u32_u24 v24, 0x90, v0, s11
	s_delay_alu instid0(VALU_DEP_3)
	v_dual_mov_b32 v15, 0 :: v_dual_add_nc_u32 v28, 0x1800, v5
	v_mov_b32_e32 v11, 0
	v_mov_b32_e32 v9, 32
	v_xor_b32_e32 v19, 16, v7
	v_xor_b32_e32 v17, 8, v7
	;; [unrolled: 1-line block ×5, first 2 shown]
	v_dual_mov_b32 v33, 0 :: v_dual_add_nc_u32 v32, 0x800, v31
	v_dual_mov_b32 v18, 0 :: v_dual_mov_b32 v3, 0xfeffffff
	s_add_u32 s4, s0, 0xd0
	s_addc_u32 s5, s1, 0
.LBB13_13:                              ; =>This Inner Loop Header: Depth=1
	s_mul_hi_i32 s9, s13, s10
	s_mul_i32 s8, s13, s10
	v_dual_mov_b32 v34, 0 :: v_dual_mov_b32 v35, 0
	s_lshl_b64 s[8:9], s[8:9], 2
	s_or_b32 s2, s13, 16
	v_add_co_u32 v5, vcc_lo, v22, s8
	v_add_co_ci_u32_e32 v6, vcc_lo, s9, v23, vcc_lo
	s_mul_hi_i32 s9, s13, s3
	s_mul_i32 s8, s13, s3
	v_mov_b32_e32 v86, v3
	global_load_b128 v[36:39], v[5:6], off
	s_lshl_b64 s[8:9], s[8:9], 2
	s_waitcnt vmcnt(0)
	ds_store_b128 v21, v[36:39]
	s_waitcnt lgkmcnt(0)
	s_barrier
	buffer_gl0_inv
	ds_load_b128 v[36:39], v24
	ds_load_b128 v[40:43], v25
	ds_load_b128 v[44:47], v25 offset:384
	s_waitcnt lgkmcnt(1)
	;;#ASMSTART
	v_dot2_f32_f16 v34, v36, v40, v34
	;;#ASMEND
	;;#ASMSTART
	v_dot2_f32_f16 v34, v37, v41, v34
	;;#ASMEND
	;;#ASMSTART
	v_dot2_f32_f16 v34, v38, v42, v34
	;;#ASMEND
	;;#ASMSTART
	v_dot2_f32_f16 v34, v39, v43, v34
	;;#ASMEND
	s_waitcnt lgkmcnt(0)
	;;#ASMSTART
	v_dot2_f32_f16 v35, v36, v44, v35
	;;#ASMEND
	;;#ASMSTART
	v_dot2_f32_f16 v35, v37, v45, v35
	;;#ASMEND
	;;#ASMSTART
	v_dot2_f32_f16 v35, v38, v46, v35
	;;#ASMEND
	;;#ASMSTART
	v_dot2_f32_f16 v35, v39, v47, v35
	;;#ASMEND
	ds_load_b128 v[36:39], v24 offset:16
	ds_load_b128 v[40:43], v25 offset:16
	ds_load_b128 v[44:47], v25 offset:400
	s_waitcnt lgkmcnt(1)
	;;#ASMSTART
	v_dot2_f32_f16 v34, v36, v40, v34
	;;#ASMEND
	;;#ASMSTART
	v_dot2_f32_f16 v34, v37, v41, v34
	;;#ASMEND
	;;#ASMSTART
	v_dot2_f32_f16 v34, v38, v42, v34
	;;#ASMEND
	;;#ASMSTART
	v_dot2_f32_f16 v34, v39, v43, v34
	;;#ASMEND
	s_waitcnt lgkmcnt(0)
	;;#ASMSTART
	v_dot2_f32_f16 v35, v36, v44, v35
	;;#ASMEND
	;;#ASMSTART
	v_dot2_f32_f16 v35, v37, v45, v35
	;;#ASMEND
	;;#ASMSTART
	v_dot2_f32_f16 v35, v38, v46, v35
	;;#ASMEND
	;;#ASMSTART
	v_dot2_f32_f16 v35, v39, v47, v35
	;;#ASMEND
	ds_load_b128 v[36:39], v24 offset:32
	ds_load_b128 v[40:43], v25 offset:32
	;; [unrolled: 29-line block ×7, first 2 shown]
	ds_load_b128 v[44:47], v25 offset:496
	s_waitcnt lgkmcnt(1)
	;;#ASMSTART
	v_dot2_f32_f16 v34, v36, v40, v34
	;;#ASMEND
	;;#ASMSTART
	v_dot2_f32_f16 v34, v37, v41, v34
	;;#ASMEND
	;; [unrolled: 3-line block ×4, first 2 shown]
	s_waitcnt lgkmcnt(0)
	;;#ASMSTART
	v_dot2_f32_f16 v35, v36, v44, v35
	;;#ASMEND
	;;#ASMSTART
	v_dot2_f32_f16 v35, v37, v45, v35
	;;#ASMEND
	;;#ASMSTART
	v_dot2_f32_f16 v35, v38, v46, v35
	;;#ASMEND
	;;#ASMSTART
	v_dot2_f32_f16 v35, v39, v47, v35
	;;#ASMEND
	s_barrier
	buffer_gl0_inv
	global_load_b128 v[36:39], v[5:6], off offset:128
	s_waitcnt vmcnt(0)
	ds_store_b128 v21, v[36:39]
	s_waitcnt lgkmcnt(0)
	s_barrier
	buffer_gl0_inv
	ds_load_b128 v[36:39], v24
	ds_load_b128 v[40:43], v25 offset:128
	ds_load_b128 v[44:47], v25 offset:512
	s_waitcnt lgkmcnt(1)
	;;#ASMSTART
	v_dot2_f32_f16 v34, v36, v40, v34
	;;#ASMEND
	;;#ASMSTART
	v_dot2_f32_f16 v34, v37, v41, v34
	;;#ASMEND
	;;#ASMSTART
	v_dot2_f32_f16 v34, v38, v42, v34
	;;#ASMEND
	;;#ASMSTART
	v_dot2_f32_f16 v34, v39, v43, v34
	;;#ASMEND
	s_waitcnt lgkmcnt(0)
	;;#ASMSTART
	v_dot2_f32_f16 v35, v36, v44, v35
	;;#ASMEND
	;;#ASMSTART
	v_dot2_f32_f16 v35, v37, v45, v35
	;;#ASMEND
	;;#ASMSTART
	v_dot2_f32_f16 v35, v38, v46, v35
	;;#ASMEND
	;;#ASMSTART
	v_dot2_f32_f16 v35, v39, v47, v35
	;;#ASMEND
	ds_load_b128 v[36:39], v24 offset:16
	ds_load_b128 v[40:43], v25 offset:144
	ds_load_b128 v[44:47], v25 offset:528
	s_waitcnt lgkmcnt(1)
	;;#ASMSTART
	v_dot2_f32_f16 v34, v36, v40, v34
	;;#ASMEND
	;;#ASMSTART
	v_dot2_f32_f16 v34, v37, v41, v34
	;;#ASMEND
	;;#ASMSTART
	v_dot2_f32_f16 v34, v38, v42, v34
	;;#ASMEND
	;;#ASMSTART
	v_dot2_f32_f16 v34, v39, v43, v34
	;;#ASMEND
	s_waitcnt lgkmcnt(0)
	;;#ASMSTART
	v_dot2_f32_f16 v35, v36, v44, v35
	;;#ASMEND
	;;#ASMSTART
	v_dot2_f32_f16 v35, v37, v45, v35
	;;#ASMEND
	;;#ASMSTART
	v_dot2_f32_f16 v35, v38, v46, v35
	;;#ASMEND
	;;#ASMSTART
	v_dot2_f32_f16 v35, v39, v47, v35
	;;#ASMEND
	ds_load_b128 v[36:39], v24 offset:32
	;; [unrolled: 29-line block ×7, first 2 shown]
	ds_load_b128 v[40:43], v25 offset:240
	ds_load_b128 v[44:47], v25 offset:624
	s_waitcnt lgkmcnt(1)
	;;#ASMSTART
	v_dot2_f32_f16 v34, v36, v40, v34
	;;#ASMEND
	;;#ASMSTART
	v_dot2_f32_f16 v34, v37, v41, v34
	;;#ASMEND
	;; [unrolled: 3-line block ×4, first 2 shown]
	s_waitcnt lgkmcnt(0)
	;;#ASMSTART
	v_dot2_f32_f16 v35, v36, v44, v35
	;;#ASMEND
	;;#ASMSTART
	v_dot2_f32_f16 v35, v37, v45, v35
	;;#ASMEND
	;; [unrolled: 3-line block ×4, first 2 shown]
	s_barrier
	buffer_gl0_inv
	global_load_b128 v[36:39], v[5:6], off offset:256
	v_add_nc_u32_e32 v5, s13, v4
	s_delay_alu instid0(VALU_DEP_1) | instskip(NEXT) | instid1(VALU_DEP_1)
	v_ashrrev_i32_e32 v6, 31, v5
	v_lshlrev_b64 v[5:6], 1, v[5:6]
	s_delay_alu instid0(VALU_DEP_1) | instskip(NEXT) | instid1(VALU_DEP_2)
	v_add_co_u32 v5, vcc_lo, s36, v5
	v_add_co_ci_u32_e32 v6, vcc_lo, s37, v6, vcc_lo
	s_waitcnt vmcnt(0)
	ds_store_b128 v21, v[36:39]
	s_waitcnt lgkmcnt(0)
	s_barrier
	buffer_gl0_inv
	ds_load_b128 v[36:39], v24
	ds_load_b128 v[40:43], v25 offset:256
	ds_load_b128 v[44:47], v25 offset:640
	s_waitcnt lgkmcnt(1)
	;;#ASMSTART
	v_dot2_f32_f16 v34, v36, v40, v34
	;;#ASMEND
	;;#ASMSTART
	v_dot2_f32_f16 v34, v37, v41, v34
	;;#ASMEND
	;;#ASMSTART
	v_dot2_f32_f16 v34, v38, v42, v34
	;;#ASMEND
	;;#ASMSTART
	v_dot2_f32_f16 v34, v39, v43, v34
	;;#ASMEND
	s_waitcnt lgkmcnt(0)
	;;#ASMSTART
	v_dot2_f32_f16 v35, v36, v44, v35
	;;#ASMEND
	;;#ASMSTART
	v_dot2_f32_f16 v35, v37, v45, v35
	;;#ASMEND
	;;#ASMSTART
	v_dot2_f32_f16 v35, v38, v46, v35
	;;#ASMEND
	;;#ASMSTART
	v_dot2_f32_f16 v35, v39, v47, v35
	;;#ASMEND
	ds_load_b128 v[36:39], v24 offset:16
	ds_load_b128 v[40:43], v25 offset:272
	ds_load_b128 v[44:47], v25 offset:656
	s_waitcnt lgkmcnt(1)
	;;#ASMSTART
	v_dot2_f32_f16 v34, v36, v40, v34
	;;#ASMEND
	;;#ASMSTART
	v_dot2_f32_f16 v34, v37, v41, v34
	;;#ASMEND
	;;#ASMSTART
	v_dot2_f32_f16 v34, v38, v42, v34
	;;#ASMEND
	;;#ASMSTART
	v_dot2_f32_f16 v34, v39, v43, v34
	;;#ASMEND
	s_waitcnt lgkmcnt(0)
	;;#ASMSTART
	v_dot2_f32_f16 v35, v36, v44, v35
	;;#ASMEND
	;;#ASMSTART
	v_dot2_f32_f16 v35, v37, v45, v35
	;;#ASMEND
	;;#ASMSTART
	v_dot2_f32_f16 v35, v38, v46, v35
	;;#ASMEND
	;;#ASMSTART
	v_dot2_f32_f16 v35, v39, v47, v35
	;;#ASMEND
	ds_load_b128 v[36:39], v24 offset:32
	;; [unrolled: 29-line block ×7, first 2 shown]
	ds_load_b128 v[40:43], v25 offset:368
	ds_load_b128 v[44:47], v25 offset:752
	s_waitcnt lgkmcnt(1)
	;;#ASMSTART
	v_dot2_f32_f16 v34, v36, v40, v34
	;;#ASMEND
	;;#ASMSTART
	v_dot2_f32_f16 v34, v37, v41, v34
	;;#ASMEND
	;; [unrolled: 3-line block ×4, first 2 shown]
	s_waitcnt lgkmcnt(0)
	;;#ASMSTART
	v_dot2_f32_f16 v35, v36, v44, v35
	;;#ASMEND
	;;#ASMSTART
	v_dot2_f32_f16 v35, v37, v45, v35
	;;#ASMEND
	;; [unrolled: 3-line block ×4, first 2 shown]
	flat_load_u16 v40, v[5:6]
	v_add_co_u32 v5, vcc_lo, v29, s8
	v_add_co_ci_u32_e32 v6, vcc_lo, s9, v30, vcc_lo
	v_cmp_gt_i32_e32 vcc_lo, 32, v19
	v_mov_b32_e32 v87, v2
	s_waitcnt vmcnt(0) lgkmcnt(0)
	s_barrier
	buffer_gl0_inv
	v_cndmask_b32_e32 v2, v7, v19, vcc_lo
	v_cmp_gt_i32_e32 vcc_lo, 32, v17
	global_load_b128 v[36:39], v[5:6], off
	v_dual_max_f32 v44, v86, v86 :: v_dual_max_f32 v45, v87, v87
	v_dual_cndmask_b32 v3, v7, v17 :: v_dual_lshlrev_b32 v2, 2, v2
	v_cmp_gt_i32_e32 vcc_lo, 32, v16
	s_mul_hi_i32 s9, s2, s3
	s_mul_i32 s8, s2, s3
	s_delay_alu instid0(VALU_DEP_2) | instskip(SKIP_3) | instid1(VALU_DEP_2)
	v_lshlrev_b32_e32 v3, 2, v3
	v_cndmask_b32_e32 v5, v7, v16, vcc_lo
	v_cmp_gt_i32_e32 vcc_lo, 32, v14
	s_lshl_b64 s[8:9], s[8:9], 2
	v_lshlrev_b32_e32 v42, 2, v5
	v_cndmask_b32_e32 v6, v7, v14, vcc_lo
	v_cmp_gt_i32_e32 vcc_lo, 32, v13
	v_cvt_f32_f16_e32 v40, v40
	v_cndmask_b32_e32 v41, v7, v13, vcc_lo
	v_add_co_u32 v5, vcc_lo, v29, s8
	s_delay_alu instid0(VALU_DEP_2) | instskip(NEXT) | instid1(VALU_DEP_1)
	v_dual_add_f32 v34, v34, v40 :: v_dual_lshlrev_b32 v41, 2, v41
	v_dual_add_f32 v46, 0x40051340, v34 :: v_dual_add_f32 v35, v35, v40
	v_lshlrev_b32_e32 v43, 2, v6
	v_add_co_ci_u32_e32 v6, vcc_lo, s9, v30, vcc_lo
	s_delay_alu instid0(VALU_DEP_3) | instskip(NEXT) | instid1(VALU_DEP_1)
	v_add_f32_e32 v40, 0x40051340, v35
	v_max_f32_e32 v40, v44, v40
	v_max_f32_e32 v44, v45, v46
	ds_bpermute_b32 v45, v2, v40
	ds_bpermute_b32 v2, v2, v44
	s_waitcnt lgkmcnt(0)
	v_dual_max_f32 v45, v45, v45 :: v_dual_max_f32 v2, v2, v2
	s_delay_alu instid0(VALU_DEP_1) | instskip(NEXT) | instid1(VALU_DEP_2)
	v_max_f32_e32 v40, v40, v45
	v_max_f32_e32 v2, v44, v2
	ds_bpermute_b32 v44, v3, v40
	ds_bpermute_b32 v3, v3, v2
	s_waitcnt lgkmcnt(0)
	v_dual_max_f32 v44, v44, v44 :: v_dual_max_f32 v3, v3, v3
	s_delay_alu instid0(VALU_DEP_1) | instskip(NEXT) | instid1(VALU_DEP_2)
	v_max_f32_e32 v40, v40, v44
	v_max_f32_e32 v2, v2, v3
	ds_bpermute_b32 v3, v42, v40
	s_waitcnt lgkmcnt(0)
	v_max_f32_e32 v3, v3, v3
	s_delay_alu instid0(VALU_DEP_1) | instskip(SKIP_3) | instid1(VALU_DEP_1)
	v_max_f32_e32 v3, v40, v3
	ds_bpermute_b32 v40, v43, v3
	s_waitcnt lgkmcnt(0)
	v_max_f32_e32 v40, v40, v40
	v_max_f32_e32 v3, v3, v40
	ds_bpermute_b32 v40, v41, v3
	s_waitcnt lgkmcnt(0)
	v_max_f32_e32 v40, v40, v40
	s_delay_alu instid0(VALU_DEP_1) | instskip(SKIP_2) | instid1(VALU_DEP_1)
	v_max_f32_e32 v3, v3, v40
	ds_bpermute_b32 v42, v42, v2
	v_sub_f32_e32 v35, v35, v3
	v_cmp_ngt_f32_e64 s2, 0xc2ce8ed0, v35
	s_waitcnt lgkmcnt(0)
	v_max_f32_e32 v42, v42, v42
	s_delay_alu instid0(VALU_DEP_1) | instskip(SKIP_3) | instid1(VALU_DEP_1)
	v_max_f32_e32 v2, v2, v42
	ds_bpermute_b32 v42, v43, v2
	s_waitcnt lgkmcnt(0)
	v_max_f32_e32 v42, v42, v42
	v_max_f32_e32 v2, v2, v42
	ds_bpermute_b32 v41, v41, v2
	s_waitcnt lgkmcnt(0)
	v_max_f32_e32 v41, v41, v41
	s_delay_alu instid0(VALU_DEP_1) | instskip(SKIP_1) | instid1(VALU_DEP_2)
	v_max_f32_e32 v2, v2, v41
	v_mul_f32_e32 v40, 0x3fb8aa3b, v35
	v_sub_f32_e32 v34, v34, v2
	s_delay_alu instid0(VALU_DEP_2) | instskip(SKIP_1) | instid1(VALU_DEP_3)
	v_fma_f32 v42, 0x3fb8aa3b, v35, -v40
	v_rndne_f32_e32 v43, v40
	v_mul_f32_e32 v41, 0x3fb8aa3b, v34
	s_delay_alu instid0(VALU_DEP_3) | instskip(NEXT) | instid1(VALU_DEP_3)
	v_fmac_f32_e32 v42, 0x32a5705f, v35
	v_sub_f32_e32 v40, v40, v43
	v_cvt_i32_f32_e32 v43, v43
	v_cmp_ngt_f32_e32 vcc_lo, 0xc2ce8ed0, v34
	v_fma_f32 v44, 0x3fb8aa3b, v34, -v41
	v_rndne_f32_e32 v45, v41
	v_add_f32_e32 v40, v40, v42
	s_delay_alu instid0(VALU_DEP_2) | instskip(NEXT) | instid1(VALU_DEP_2)
	v_dual_fmac_f32 v44, 0x32a5705f, v34 :: v_dual_sub_f32 v41, v41, v45
	v_exp_f32_e32 v40, v40
	v_cvt_i32_f32_e32 v45, v45
	s_delay_alu instid0(VALU_DEP_2) | instskip(NEXT) | instid1(VALU_DEP_1)
	v_add_f32_e32 v41, v41, v44
	v_exp_f32_e32 v41, v41
	s_waitcnt_depctr 0xfff
	v_ldexp_f32 v40, v40, v43
	s_delay_alu instid0(VALU_DEP_1) | instskip(SKIP_2) | instid1(VALU_DEP_2)
	v_cndmask_b32_e64 v40, 0, v40, s2
	v_cmp_nlt_f32_e64 s2, 0x42b17218, v35
	v_ldexp_f32 v41, v41, v45
	v_cndmask_b32_e64 v88, 0x7f800000, v40, s2
	s_delay_alu instid0(VALU_DEP_2) | instskip(SKIP_1) | instid1(VALU_DEP_3)
	v_cndmask_b32_e32 v41, 0, v41, vcc_lo
	v_cmp_nlt_f32_e32 vcc_lo, 0x42b17218, v34
	v_cvt_f16_f32_e32 v34, v88
	s_delay_alu instid0(VALU_DEP_3) | instskip(NEXT) | instid1(VALU_DEP_1)
	v_cndmask_b32_e32 v89, 0x7f800000, v41, vcc_lo
	v_cvt_f16_f32_e32 v35, v89
	s_delay_alu instid0(VALU_DEP_1)
	v_pack_b32_f16 v34, v35, v34
	ds_store_b32 v27, v34
	s_waitcnt vmcnt(0)
	ds_store_b128 v28, v[36:39]
	s_waitcnt lgkmcnt(0)
	s_barrier
	buffer_gl0_inv
	ds_load_2addr_b64 v[34:37], v31 offset1:32
	ds_load_b128 v[38:41], v26
	ds_load_b128 v[42:45], v26 offset:16
	ds_load_b128 v[46:49], v26 offset:32
	;; [unrolled: 1-line block ×3, first 2 shown]
	ds_load_2addr_b64 v[54:57], v31 offset0:64 offset1:96
	ds_load_2addr_b64 v[58:61], v31 offset0:128 offset1:160
	;; [unrolled: 1-line block ×3, first 2 shown]
	ds_load_2addr_b64 v[66:69], v32 offset1:32
	ds_load_2addr_b64 v[70:73], v32 offset0:64 offset1:96
	ds_load_2addr_b64 v[74:77], v32 offset0:128 offset1:160
	;; [unrolled: 1-line block ×3, first 2 shown]
	s_waitcnt lgkmcnt(0)
	s_barrier
	buffer_gl0_inv
	global_load_b128 v[82:85], v[5:6], off
	v_dual_sub_f32 v6, v86, v3 :: v_dual_mov_b32 v5, v33
	v_sub_f32_e32 v33, v87, v2
	s_delay_alu instid0(VALU_DEP_2) | instskip(SKIP_1) | instid1(VALU_DEP_3)
	v_mul_f32_e32 v86, 0x3fb8aa3b, v6
	v_cmp_ngt_f32_e64 s2, 0xc2ce8ed0, v6
	v_mul_f32_e32 v87, 0x3fb8aa3b, v33
	v_cmp_ngt_f32_e32 vcc_lo, 0xc2ce8ed0, v33
	s_delay_alu instid0(VALU_DEP_4) | instskip(SKIP_1) | instid1(VALU_DEP_4)
	v_fma_f32 v90, 0x3fb8aa3b, v6, -v86
	v_rndne_f32_e32 v91, v86
	v_fma_f32 v92, 0x3fb8aa3b, v33, -v87
	v_rndne_f32_e32 v93, v87
	s_delay_alu instid0(VALU_DEP_4) | instskip(NEXT) | instid1(VALU_DEP_4)
	v_fmac_f32_e32 v90, 0x32a5705f, v6
	v_sub_f32_e32 v86, v86, v91
	s_delay_alu instid0(VALU_DEP_4) | instskip(NEXT) | instid1(VALU_DEP_4)
	v_fmac_f32_e32 v92, 0x32a5705f, v33
	v_sub_f32_e32 v87, v87, v93
	v_cvt_i32_f32_e32 v91, v91
	v_cvt_i32_f32_e32 v93, v93
	s_delay_alu instid0(VALU_DEP_3) | instskip(NEXT) | instid1(VALU_DEP_1)
	v_dual_add_f32 v86, v86, v90 :: v_dual_add_f32 v87, v87, v92
	v_exp_f32_e32 v86, v86
	s_delay_alu instid0(VALU_DEP_1) | instskip(SKIP_3) | instid1(VALU_DEP_2)
	v_exp_f32_e32 v87, v87
	s_waitcnt_depctr 0xfff
	v_ldexp_f32 v86, v86, v91
	v_ldexp_f32 v87, v87, v93
	v_cndmask_b32_e64 v86, 0, v86, s2
	v_cmp_nlt_f32_e64 s2, 0x42b17218, v6
	s_delay_alu instid0(VALU_DEP_3) | instskip(SKIP_1) | instid1(VALU_DEP_3)
	v_cndmask_b32_e32 v87, 0, v87, vcc_lo
	v_cmp_nlt_f32_e32 vcc_lo, 0x42b17218, v33
	v_cndmask_b32_e64 v6, 0x7f800000, v86, s2
	s_delay_alu instid0(VALU_DEP_3) | instskip(SKIP_2) | instid1(VALU_DEP_4)
	v_cndmask_b32_e32 v33, 0x7f800000, v87, vcc_lo
	v_pk_mul_f16 v87, v34, v38 op_sel_hi:[1,0]
	v_pk_mul_f16 v34, v34, v38 op_sel:[0,1]
	v_cvt_f16_f32_e32 v86, v6
	s_delay_alu instid0(VALU_DEP_4) | instskip(SKIP_2) | instid1(VALU_DEP_4)
	v_fma_f32 v20, v20, v33, v89
	v_cvt_f16_f32_e32 v33, v33
	v_pk_mul_f16 v89, v35, v38 op_sel_hi:[1,0]
	v_pk_mul_f16 v11, v86, v11 op_sel_hi:[0,1]
	v_pk_fma_f16 v12, v86, v12, v34 op_sel_hi:[0,1,1]
	s_delay_alu instid0(VALU_DEP_4) | instskip(NEXT) | instid1(VALU_DEP_4)
	v_pk_fma_f16 v15, v33, v15, v87 op_sel_hi:[0,1,1]
	v_pk_fma_f16 v18, v33, v18, v89 op_sel_hi:[0,1,1]
	s_delay_alu instid0(VALU_DEP_4) | instskip(NEXT) | instid1(VALU_DEP_4)
	v_pk_fma_f16 v11, v35, v38, v11 op_sel:[0,1,0]
	v_pk_fma_f16 v12, v36, v39, v12 op_sel:[0,1,0]
	s_delay_alu instid0(VALU_DEP_4) | instskip(NEXT) | instid1(VALU_DEP_4)
	v_pk_fma_f16 v15, v36, v39, v15 op_sel_hi:[1,0,1]
	v_pk_fma_f16 v18, v37, v39, v18 op_sel_hi:[1,0,1]
	s_delay_alu instid0(VALU_DEP_4) | instskip(NEXT) | instid1(VALU_DEP_4)
	v_pk_fma_f16 v11, v37, v39, v11 op_sel:[0,1,0]
	v_pk_fma_f16 v12, v54, v40, v12 op_sel:[0,1,0]
	;; [unrolled: 6-line block ×15, first 2 shown]
	s_delay_alu instid0(VALU_DEP_4) | instskip(NEXT) | instid1(VALU_DEP_4)
	v_pk_fma_f16 v15, v80, v53, v15 op_sel_hi:[1,0,1]
	v_pk_fma_f16 v18, v81, v53, v18 op_sel_hi:[1,0,1]
	s_delay_alu instid0(VALU_DEP_4)
	v_pk_fma_f16 v11, v81, v53, v11 op_sel:[0,1,0]
	s_waitcnt vmcnt(0)
	ds_store_b128 v28, v[82:85]
	s_waitcnt lgkmcnt(0)
	s_barrier
	buffer_gl0_inv
	ds_load_2addr_b64 v[33:36], v31 offset1:32
	ds_load_b128 v[37:40], v26 offset:64
	ds_load_b128 v[41:44], v26 offset:80
	;; [unrolled: 1-line block ×4, first 2 shown]
	ds_load_2addr_b64 v[53:56], v31 offset0:64 offset1:96
	ds_load_2addr_b64 v[57:60], v31 offset0:128 offset1:160
	;; [unrolled: 1-line block ×3, first 2 shown]
	ds_load_2addr_b64 v[65:68], v32 offset1:32
	ds_load_2addr_b64 v[69:72], v32 offset0:64 offset1:96
	ds_load_2addr_b64 v[73:76], v32 offset0:128 offset1:160
	;; [unrolled: 1-line block ×3, first 2 shown]
	s_waitcnt lgkmcnt(0)
	s_barrier
	buffer_gl0_inv
	s_load_b32 s2, s[4:5], 0x4
	v_pk_fma_f16 v15, v33, v37, v15 op_sel_hi:[1,0,1]
	v_pk_fma_f16 v12, v33, v37, v12 op_sel:[0,1,0]
	v_pk_fma_f16 v18, v34, v37, v18 op_sel_hi:[1,0,1]
	v_pk_fma_f16 v11, v34, v37, v11 op_sel:[0,1,0]
	v_mov_b32_e32 v33, v88
	v_pk_fma_f16 v15, v35, v38, v15 op_sel_hi:[1,0,1]
	v_pk_fma_f16 v12, v35, v38, v12 op_sel:[0,1,0]
	v_pk_fma_f16 v18, v36, v38, v18 op_sel_hi:[1,0,1]
	v_pk_fma_f16 v11, v36, v38, v11 op_sel:[0,1,0]
	v_fmac_f32_e32 v33, v5, v6
	v_pk_fma_f16 v15, v53, v39, v15 op_sel_hi:[1,0,1]
	v_pk_fma_f16 v12, v53, v39, v12 op_sel:[0,1,0]
	v_pk_fma_f16 v18, v54, v39, v18 op_sel_hi:[1,0,1]
	v_pk_fma_f16 v11, v54, v39, v11 op_sel:[0,1,0]
	s_waitcnt lgkmcnt(0)
	s_lshl_b32 s2, s2, 5
	v_pk_fma_f16 v15, v55, v40, v15 op_sel_hi:[1,0,1]
	v_pk_fma_f16 v12, v55, v40, v12 op_sel:[0,1,0]
	v_pk_fma_f16 v18, v56, v40, v18 op_sel_hi:[1,0,1]
	v_pk_fma_f16 v11, v56, v40, v11 op_sel:[0,1,0]
	s_add_i32 s13, s2, s13
	v_pk_fma_f16 v15, v57, v41, v15 op_sel_hi:[1,0,1]
	v_pk_fma_f16 v12, v57, v41, v12 op_sel:[0,1,0]
	v_pk_fma_f16 v18, v58, v41, v18 op_sel_hi:[1,0,1]
	v_pk_fma_f16 v11, v58, v41, v11 op_sel:[0,1,0]
	s_cmp_ge_i32 s13, s34
	v_pk_fma_f16 v15, v59, v42, v15 op_sel_hi:[1,0,1]
	v_pk_fma_f16 v12, v59, v42, v12 op_sel:[0,1,0]
	v_pk_fma_f16 v18, v60, v42, v18 op_sel_hi:[1,0,1]
	v_pk_fma_f16 v11, v60, v42, v11 op_sel:[0,1,0]
	s_delay_alu instid0(VALU_DEP_4) | instskip(NEXT) | instid1(VALU_DEP_4)
	v_pk_fma_f16 v15, v61, v43, v15 op_sel_hi:[1,0,1]
	v_pk_fma_f16 v12, v61, v43, v12 op_sel:[0,1,0]
	s_delay_alu instid0(VALU_DEP_4) | instskip(NEXT) | instid1(VALU_DEP_4)
	v_pk_fma_f16 v18, v62, v43, v18 op_sel_hi:[1,0,1]
	v_pk_fma_f16 v11, v62, v43, v11 op_sel:[0,1,0]
	s_delay_alu instid0(VALU_DEP_4) | instskip(NEXT) | instid1(VALU_DEP_4)
	v_pk_fma_f16 v15, v63, v44, v15 op_sel_hi:[1,0,1]
	v_pk_fma_f16 v12, v63, v44, v12 op_sel:[0,1,0]
	s_delay_alu instid0(VALU_DEP_4) | instskip(NEXT) | instid1(VALU_DEP_4)
	v_pk_fma_f16 v18, v64, v44, v18 op_sel_hi:[1,0,1]
	v_pk_fma_f16 v11, v64, v44, v11 op_sel:[0,1,0]
	s_delay_alu instid0(VALU_DEP_4) | instskip(NEXT) | instid1(VALU_DEP_4)
	v_pk_fma_f16 v15, v65, v45, v15 op_sel_hi:[1,0,1]
	v_pk_fma_f16 v12, v65, v45, v12 op_sel:[0,1,0]
	s_delay_alu instid0(VALU_DEP_4) | instskip(NEXT) | instid1(VALU_DEP_4)
	v_pk_fma_f16 v18, v66, v45, v18 op_sel_hi:[1,0,1]
	v_pk_fma_f16 v11, v66, v45, v11 op_sel:[0,1,0]
	s_delay_alu instid0(VALU_DEP_4) | instskip(NEXT) | instid1(VALU_DEP_4)
	v_pk_fma_f16 v15, v67, v46, v15 op_sel_hi:[1,0,1]
	v_pk_fma_f16 v12, v67, v46, v12 op_sel:[0,1,0]
	s_delay_alu instid0(VALU_DEP_4) | instskip(NEXT) | instid1(VALU_DEP_4)
	v_pk_fma_f16 v18, v68, v46, v18 op_sel_hi:[1,0,1]
	v_pk_fma_f16 v11, v68, v46, v11 op_sel:[0,1,0]
	s_delay_alu instid0(VALU_DEP_4) | instskip(NEXT) | instid1(VALU_DEP_4)
	v_pk_fma_f16 v15, v69, v47, v15 op_sel_hi:[1,0,1]
	v_pk_fma_f16 v12, v69, v47, v12 op_sel:[0,1,0]
	s_delay_alu instid0(VALU_DEP_4) | instskip(NEXT) | instid1(VALU_DEP_4)
	v_pk_fma_f16 v18, v70, v47, v18 op_sel_hi:[1,0,1]
	v_pk_fma_f16 v11, v70, v47, v11 op_sel:[0,1,0]
	s_delay_alu instid0(VALU_DEP_4) | instskip(NEXT) | instid1(VALU_DEP_4)
	v_pk_fma_f16 v15, v71, v48, v15 op_sel_hi:[1,0,1]
	v_pk_fma_f16 v12, v71, v48, v12 op_sel:[0,1,0]
	s_delay_alu instid0(VALU_DEP_4) | instskip(NEXT) | instid1(VALU_DEP_4)
	v_pk_fma_f16 v18, v72, v48, v18 op_sel_hi:[1,0,1]
	v_pk_fma_f16 v11, v72, v48, v11 op_sel:[0,1,0]
	s_delay_alu instid0(VALU_DEP_4) | instskip(NEXT) | instid1(VALU_DEP_4)
	v_pk_fma_f16 v15, v73, v49, v15 op_sel_hi:[1,0,1]
	v_pk_fma_f16 v12, v73, v49, v12 op_sel:[0,1,0]
	s_delay_alu instid0(VALU_DEP_4) | instskip(NEXT) | instid1(VALU_DEP_4)
	v_pk_fma_f16 v18, v74, v49, v18 op_sel_hi:[1,0,1]
	v_pk_fma_f16 v11, v74, v49, v11 op_sel:[0,1,0]
	s_delay_alu instid0(VALU_DEP_4) | instskip(NEXT) | instid1(VALU_DEP_4)
	v_pk_fma_f16 v5, v75, v50, v15 op_sel_hi:[1,0,1]
	v_pk_fma_f16 v6, v75, v50, v12 op_sel:[0,1,0]
	s_delay_alu instid0(VALU_DEP_4) | instskip(NEXT) | instid1(VALU_DEP_4)
	v_pk_fma_f16 v12, v76, v50, v18 op_sel_hi:[1,0,1]
	v_pk_fma_f16 v11, v76, v50, v11 op_sel:[0,1,0]
	s_delay_alu instid0(VALU_DEP_4) | instskip(NEXT) | instid1(VALU_DEP_4)
	v_pk_fma_f16 v5, v77, v51, v5 op_sel_hi:[1,0,1]
	v_pk_fma_f16 v6, v77, v51, v6 op_sel:[0,1,0]
	s_delay_alu instid0(VALU_DEP_4) | instskip(NEXT) | instid1(VALU_DEP_4)
	v_pk_fma_f16 v18, v78, v51, v12 op_sel_hi:[1,0,1]
	v_pk_fma_f16 v11, v78, v51, v11 op_sel:[0,1,0]
	s_delay_alu instid0(VALU_DEP_4) | instskip(NEXT) | instid1(VALU_DEP_4)
	v_pk_fma_f16 v15, v79, v52, v5 op_sel_hi:[1,0,1]
	v_pk_fma_f16 v12, v79, v52, v6 op_sel:[0,1,0]
	s_delay_alu instid0(VALU_DEP_4) | instskip(NEXT) | instid1(VALU_DEP_4)
	v_pk_fma_f16 v18, v80, v52, v18 op_sel_hi:[1,0,1]
	v_pk_fma_f16 v11, v80, v52, v11 op_sel:[0,1,0]
	s_cbranch_scc0 .LBB13_13
; %bb.14:
	v_mov_b32_e32 v21, v7
.LBB13_15:
	v_cmp_lt_i32_e32 vcc_lo, v19, v9
	s_cmp_lg_u64 s[24:25], 0
	s_cselect_b32 s2, -1, 0
	s_cmp_eq_u32 s14, 0
	v_cndmask_b32_e32 v4, v21, v19, vcc_lo
	v_cmp_lt_i32_e32 vcc_lo, v17, v9
	s_cselect_b32 s3, -1, 0
	s_delay_alu instid0(SALU_CYCLE_1) | instskip(NEXT) | instid1(VALU_DEP_2)
	s_and_b32 s2, s3, s2
	v_lshlrev_b32_e32 v4, 2, v4
	v_cndmask_b32_e32 v6, v21, v17, vcc_lo
	v_cmp_lt_i32_e32 vcc_lo, v16, v9
	ds_bpermute_b32 v5, v4, v20
	v_cndmask_b32_e32 v16, v21, v16, vcc_lo
	v_cmp_lt_i32_e32 vcc_lo, v14, v9
	v_cndmask_b32_e32 v14, v21, v14, vcc_lo
	v_cmp_lt_i32_e32 vcc_lo, v13, v9
	v_lshlrev_b32_e32 v6, 2, v6
	s_delay_alu instid0(VALU_DEP_3) | instskip(SKIP_1) | instid1(VALU_DEP_1)
	v_dual_cndmask_b32 v9, v21, v13 :: v_dual_lshlrev_b32 v14, 2, v14
	s_and_b32 vcc_lo, exec_lo, s2
	v_lshlrev_b32_e32 v9, 2, v9
	s_waitcnt lgkmcnt(0)
	v_add_f32_e32 v5, v20, v5
	ds_bpermute_b32 v7, v6, v5
	s_waitcnt lgkmcnt(0)
	v_add_f32_e32 v5, v5, v7
	ds_bpermute_b32 v4, v4, v33
	v_lshlrev_b32_e32 v16, 2, v16
	s_waitcnt lgkmcnt(0)
	v_add_f32_e32 v4, v33, v4
	ds_bpermute_b32 v6, v6, v4
	s_waitcnt lgkmcnt(0)
	v_add_f32_e32 v4, v4, v6
	ds_bpermute_b32 v6, v16, v5
	;; [unrolled: 3-line block ×3, first 2 shown]
	ds_bpermute_b32 v6, v14, v5
	s_waitcnt lgkmcnt(0)
	v_dual_add_f32 v4, v4, v7 :: v_dual_add_f32 v5, v5, v6
	ds_bpermute_b32 v7, v14, v4
	s_waitcnt lgkmcnt(0)
	v_add_f32_e32 v6, v4, v7
	ds_bpermute_b32 v4, v9, v5
	ds_bpermute_b32 v7, v9, v6
	s_waitcnt lgkmcnt(0)
	v_dual_add_f32 v4, v5, v4 :: v_dual_add_f32 v5, v6, v7
	s_cbranch_vccz .LBB13_18
; %bb.16:
	v_dual_max_f32 v9, v2, v2 :: v_dual_add_nc_u32 v6, s15, v8
	v_max_f32_e32 v14, v3, v3
	s_delay_alu instid0(VALU_DEP_2) | instskip(NEXT) | instid1(VALU_DEP_1)
	v_ashrrev_i32_e32 v7, 31, v6
	v_lshlrev_b64 v[6:7], 2, v[6:7]
	s_delay_alu instid0(VALU_DEP_1) | instskip(NEXT) | instid1(VALU_DEP_2)
	v_add_co_u32 v6, vcc_lo, s24, v6
	v_add_co_ci_u32_e32 v7, vcc_lo, s25, v7, vcc_lo
	global_load_b64 v[6:7], v[6:7], off
	s_waitcnt vmcnt(0)
	v_dual_max_f32 v13, v6, v6 :: v_dual_max_f32 v16, v7, v7
	s_delay_alu instid0(VALU_DEP_1) | instskip(NEXT) | instid1(VALU_DEP_1)
	v_max_f32_e32 v13, v9, v13
	v_sub_f32_e32 v2, v2, v13
	s_delay_alu instid0(VALU_DEP_1) | instskip(NEXT) | instid1(VALU_DEP_1)
	v_dual_max_f32 v14, v14, v16 :: v_dual_mul_f32 v9, 0x3fb8aa3b, v2
	v_dual_sub_f32 v6, v6, v13 :: v_dual_sub_f32 v7, v7, v14
	v_sub_f32_e32 v3, v3, v14
	v_cmp_ngt_f32_e32 vcc_lo, 0xc2ce8ed0, v2
	s_delay_alu instid0(VALU_DEP_4) | instskip(NEXT) | instid1(VALU_DEP_4)
	v_fma_f32 v20, 0x3fb8aa3b, v2, -v9
	v_mul_f32_e32 v16, 0x3fb8aa3b, v6
	v_rndne_f32_e32 v21, v9
	v_mul_f32_e32 v17, 0x3fb8aa3b, v3
	s_delay_alu instid0(VALU_DEP_4) | instskip(NEXT) | instid1(VALU_DEP_4)
	v_fmac_f32_e32 v20, 0x32a5705f, v2
	v_fma_f32 v22, 0x3fb8aa3b, v6, -v16
	s_delay_alu instid0(VALU_DEP_4) | instskip(SKIP_3) | instid1(VALU_DEP_4)
	v_sub_f32_e32 v9, v9, v21
	v_rndne_f32_e32 v23, v16
	v_rndne_f32_e32 v25, v17
	v_fma_f32 v24, 0x3fb8aa3b, v3, -v17
	v_dual_fmac_f32 v22, 0x32a5705f, v6 :: v_dual_add_f32 v9, v9, v20
	s_delay_alu instid0(VALU_DEP_3) | instskip(SKIP_2) | instid1(VALU_DEP_4)
	v_dual_sub_f32 v16, v16, v23 :: v_dual_sub_f32 v17, v17, v25
	v_mul_f32_e32 v19, 0x3fb8aa3b, v7
	v_cvt_i32_f32_e32 v20, v21
	v_exp_f32_e32 v9, v9
	s_delay_alu instid0(VALU_DEP_3)
	v_add_f32_e32 v16, v16, v22
	v_cvt_i32_f32_e32 v21, v23
	v_fma_f32 v26, 0x3fb8aa3b, v7, -v19
	v_rndne_f32_e32 v27, v19
	v_cvt_i32_f32_e32 v22, v25
	v_exp_f32_e32 v16, v16
	s_delay_alu instid0(VALU_DEP_3) | instskip(NEXT) | instid1(VALU_DEP_3)
	v_fmac_f32_e32 v26, 0x32a5705f, v7
	v_cvt_i32_f32_e32 v23, v27
	s_delay_alu instid0(TRANS32_DEP_2) | instskip(NEXT) | instid1(VALU_DEP_1)
	v_ldexp_f32 v9, v9, v20
	v_cndmask_b32_e32 v9, 0, v9, vcc_lo
	s_waitcnt_depctr 0xfff
	v_ldexp_f32 v16, v16, v21
	v_cmp_ngt_f32_e32 vcc_lo, 0xc2ce8ed0, v6
	s_delay_alu instid0(VALU_DEP_2) | instskip(NEXT) | instid1(VALU_DEP_1)
	v_dual_sub_f32 v19, v19, v27 :: v_dual_cndmask_b32 v16, 0, v16
	v_dual_fmac_f32 v24, 0x32a5705f, v3 :: v_dual_add_f32 v19, v19, v26
	v_cmp_ngt_f32_e32 vcc_lo, 0xc2ce8ed0, v3
	s_delay_alu instid0(VALU_DEP_2) | instskip(NEXT) | instid1(VALU_DEP_3)
	v_add_f32_e32 v17, v17, v24
	v_exp_f32_e32 v19, v19
	s_delay_alu instid0(VALU_DEP_1) | instskip(SKIP_3) | instid1(VALU_DEP_1)
	v_exp_f32_e32 v17, v17
	s_waitcnt_depctr 0xfff
	v_ldexp_f32 v19, v19, v23
	v_ldexp_f32 v17, v17, v22
	v_cndmask_b32_e32 v17, 0, v17, vcc_lo
	v_cmp_ngt_f32_e32 vcc_lo, 0xc2ce8ed0, v7
	s_delay_alu instid0(VALU_DEP_4)
	v_cndmask_b32_e32 v19, 0, v19, vcc_lo
	v_cmp_nlt_f32_e32 vcc_lo, 0x42b17218, v2
	v_cndmask_b32_e32 v9, 0x7f800000, v9, vcc_lo
	v_cmp_nlt_f32_e32 vcc_lo, 0x42b17218, v6
	;; [unrolled: 2-line block ×3, first 2 shown]
	v_dual_mov_b32 v2, v13 :: v_dual_mov_b32 v3, v14
	s_delay_alu instid0(VALU_DEP_3) | instskip(NEXT) | instid1(VALU_DEP_1)
	v_fmac_f32_e32 v6, v4, v9
	v_mov_b32_e32 v4, v6
	v_cndmask_b32_e32 v16, 0x7f800000, v17, vcc_lo
	v_cmp_nlt_f32_e32 vcc_lo, 0x42b17218, v7
	v_cvt_f16_f32_e32 v17, v9
	v_cndmask_b32_e32 v7, 0x7f800000, v19, vcc_lo
	s_delay_alu instid0(VALU_DEP_2) | instskip(SKIP_1) | instid1(VALU_DEP_3)
	v_pk_mul_f16 v15, v17, v15 op_sel_hi:[0,1]
	v_pk_mul_f16 v18, v17, v18 op_sel_hi:[0,1]
	v_fmac_f32_e32 v7, v5, v16
	s_delay_alu instid0(VALU_DEP_1) | instskip(SKIP_1) | instid1(VALU_DEP_1)
	v_mov_b32_e32 v5, v7
	v_cvt_f16_f32_e32 v13, v16
	v_pk_mul_f16 v12, v13, v12 op_sel_hi:[0,1]
	v_pk_mul_f16 v11, v13, v11 op_sel_hi:[0,1]
	s_mov_b32 s2, exec_lo
	v_cmpx_gt_i32_e64 s6, v1
	s_cbranch_execnz .LBB13_19
.LBB13_17:
	s_nop 0
	s_sendmsg sendmsg(MSG_DEALLOC_VGPRS)
	s_endpgm
.LBB13_18:
	s_delay_alu instid0(VALU_DEP_1)
	v_dual_mov_b32 v7, v5 :: v_dual_mov_b32 v6, v4
	s_mov_b32 s2, exec_lo
	v_cmpx_gt_i32_e64 s6, v1
	s_cbranch_execz .LBB13_17
.LBB13_19:
	s_load_b32 s1, s[0:1], 0xd4
	v_mov_b32_e32 v13, 1.0
	s_waitcnt lgkmcnt(0)
	s_cmp_lg_u32 s1, 1
	s_cselect_b32 s3, -1, 0
	s_cmp_eq_u32 s1, 1
	s_cselect_b32 s2, -1, 0
	s_and_b32 vcc_lo, exec_lo, s3
	s_cbranch_vccnz .LBB13_21
; %bb.20:
	v_div_scale_f32 v9, null, v4, v4, 1.0
	s_delay_alu instid0(VALU_DEP_1) | instskip(SKIP_2) | instid1(VALU_DEP_1)
	v_rcp_f32_e32 v13, v9
	s_waitcnt_depctr 0xfff
	v_fma_f32 v14, -v9, v13, 1.0
	v_fmac_f32_e32 v13, v14, v13
	v_div_scale_f32 v14, vcc_lo, 1.0, v4, 1.0
	s_delay_alu instid0(VALU_DEP_1) | instskip(NEXT) | instid1(VALU_DEP_1)
	v_mul_f32_e32 v16, v14, v13
	v_fma_f32 v17, -v9, v16, v14
	s_delay_alu instid0(VALU_DEP_1) | instskip(NEXT) | instid1(VALU_DEP_1)
	v_fmac_f32_e32 v16, v17, v13
	v_fma_f32 v9, -v9, v16, v14
	s_delay_alu instid0(VALU_DEP_1) | instskip(NEXT) | instid1(VALU_DEP_1)
	v_div_fmas_f32 v9, v9, v13, v16
	v_div_fixup_f32 v13, v9, v4, 1.0
.LBB13_21:
	v_mad_u64_u32 v[16:17], null, s12, s6, v[1:2]
	v_cmp_eq_u32_e32 vcc_lo, 0, v0
	v_cvt_f32_f16_e32 v14, v15
	v_lshrrev_b32_e32 v4, 16, v15
	v_cvt_f32_f16_e32 v15, v18
	v_mul_lo_u32 v1, v16, s7
	s_delay_alu instid0(VALU_DEP_3) | instskip(NEXT) | instid1(VALU_DEP_3)
	v_cvt_f32_f16_e32 v4, v4
	v_mul_f32_e32 v16, v13, v15
	v_mul_f32_e32 v14, v13, v14
	s_delay_alu instid0(VALU_DEP_3) | instskip(SKIP_1) | instid1(VALU_DEP_1)
	v_mul_f32_e32 v15, v13, v4
	v_add3_u32 v1, s15, v8, v1
	v_mad_u64_u32 v[8:9], null, s1, v1, s[14:15]
	v_mov_b32_e32 v1, 0
	v_lshrrev_b32_e32 v9, 16, v18
	s_delay_alu instid0(VALU_DEP_1) | instskip(NEXT) | instid1(VALU_DEP_4)
	v_cvt_f32_f16_e32 v9, v9
	v_lshl_add_u32 v0, v8, 7, v10
	s_delay_alu instid0(VALU_DEP_2) | instskip(NEXT) | instid1(VALU_DEP_2)
	v_mul_f32_e32 v17, v13, v9
	v_lshlrev_b64 v[0:1], 2, v[0:1]
	s_delay_alu instid0(VALU_DEP_1) | instskip(NEXT) | instid1(VALU_DEP_1)
	v_add_co_u32 v0, s0, s28, v0
	v_add_co_ci_u32_e64 v1, s0, s29, v1, s0
	s_and_b32 s0, vcc_lo, s3
	global_store_b128 v[0:1], v[14:17], off
	s_and_saveexec_b32 s3, s0
	s_cbranch_execz .LBB13_23
; %bb.22:
	v_ashrrev_i32_e32 v9, 31, v8
	v_mov_b32_e32 v13, v2
	v_mov_b32_e32 v14, v6
	s_delay_alu instid0(VALU_DEP_3) | instskip(NEXT) | instid1(VALU_DEP_1)
	v_lshlrev_b64 v[0:1], 3, v[8:9]
	v_add_co_u32 v0, vcc_lo, s30, v0
	s_delay_alu instid0(VALU_DEP_2)
	v_add_co_ci_u32_e32 v1, vcc_lo, s31, v1, vcc_lo
	global_store_b64 v[0:1], v[13:14], off
.LBB13_23:
	s_or_b32 exec_lo, exec_lo, s3
	v_mov_b32_e32 v1, 1.0
	s_and_not1_b32 vcc_lo, exec_lo, s2
	s_cbranch_vccnz .LBB13_25
; %bb.24:
	v_div_scale_f32 v0, null, v5, v5, 1.0
	s_delay_alu instid0(VALU_DEP_1) | instskip(SKIP_2) | instid1(VALU_DEP_1)
	v_rcp_f32_e32 v1, v0
	s_waitcnt_depctr 0xfff
	v_fma_f32 v2, -v0, v1, 1.0
	v_fmac_f32_e32 v1, v2, v1
	v_div_scale_f32 v2, vcc_lo, 1.0, v5, 1.0
	s_delay_alu instid0(VALU_DEP_1) | instskip(NEXT) | instid1(VALU_DEP_1)
	v_mul_f32_e32 v4, v2, v1
	v_fma_f32 v6, -v0, v4, v2
	s_delay_alu instid0(VALU_DEP_1) | instskip(NEXT) | instid1(VALU_DEP_1)
	v_fmac_f32_e32 v4, v6, v1
	v_fma_f32 v0, -v0, v4, v2
	s_delay_alu instid0(VALU_DEP_1) | instskip(NEXT) | instid1(VALU_DEP_1)
	v_div_fmas_f32 v0, v0, v1, v4
	v_div_fixup_f32 v1, v0, v5, 1.0
.LBB13_25:
	v_dual_mov_b32 v5, 0 :: v_dual_add_nc_u32 v0, s1, v8
	v_lshrrev_b32_e32 v2, 16, v12
	v_lshrrev_b32_e32 v6, 16, v11
	v_cvt_f32_f16_e32 v8, v12
	s_delay_alu instid0(VALU_DEP_4)
	v_lshl_add_u32 v4, v0, 7, v10
	v_cvt_f32_f16_e32 v9, v11
	v_cvt_f32_f16_e32 v2, v2
	;; [unrolled: 1-line block ×3, first 2 shown]
	v_mul_f32_e32 v8, v1, v8
	v_lshlrev_b64 v[4:5], 2, v[4:5]
	v_mul_f32_e32 v10, v1, v9
	v_mul_f32_e32 v9, v1, v2
	;; [unrolled: 1-line block ×3, first 2 shown]
	s_delay_alu instid0(VALU_DEP_4)
	v_add_co_u32 v1, vcc_lo, s28, v4
	v_add_co_ci_u32_e32 v2, vcc_lo, s29, v5, vcc_lo
	global_store_b128 v[1:2], v[8:11], off
	s_and_b32 exec_lo, exec_lo, s0
	s_cbranch_execz .LBB13_17
; %bb.26:
	v_ashrrev_i32_e32 v1, 31, v0
	v_mov_b32_e32 v6, v3
	s_delay_alu instid0(VALU_DEP_2) | instskip(NEXT) | instid1(VALU_DEP_1)
	v_lshlrev_b64 v[0:1], 3, v[0:1]
	v_add_co_u32 v0, vcc_lo, s30, v0
	s_delay_alu instid0(VALU_DEP_2)
	v_add_co_ci_u32_e32 v1, vcc_lo, s31, v1, vcc_lo
	global_store_b64 v[0:1], v[6:7], off
	s_nop 0
	s_sendmsg sendmsg(MSG_DEALLOC_VGPRS)
	s_endpgm
	.section	.rodata,"a",@progbits
	.p2align	6, 0x0
	.amdhsa_kernel _ZL15flash_attn_tileILi192ELi128ELi2ELi8ELb0EEvPKcS1_S1_S1_S1_PKiPfP15HIP_vector_typeIfLj2EEffffjfiS5_IjLj3EEiiiiiiiiiiiliiliiiiil
		.amdhsa_group_segment_fixed_size 11776
		.amdhsa_private_segment_fixed_size 0
		.amdhsa_kernarg_size 464
		.amdhsa_user_sgpr_count 13
		.amdhsa_user_sgpr_dispatch_ptr 0
		.amdhsa_user_sgpr_queue_ptr 0
		.amdhsa_user_sgpr_kernarg_segment_ptr 1
		.amdhsa_user_sgpr_dispatch_id 0
		.amdhsa_user_sgpr_private_segment_size 0
		.amdhsa_wavefront_size32 1
		.amdhsa_uses_dynamic_stack 0
		.amdhsa_enable_private_segment 0
		.amdhsa_system_sgpr_workgroup_id_x 1
		.amdhsa_system_sgpr_workgroup_id_y 1
		.amdhsa_system_sgpr_workgroup_id_z 1
		.amdhsa_system_sgpr_workgroup_info 0
		.amdhsa_system_vgpr_workitem_id 1
		.amdhsa_next_free_vgpr 94
		.amdhsa_next_free_sgpr 40
		.amdhsa_reserve_vcc 1
		.amdhsa_float_round_mode_32 0
		.amdhsa_float_round_mode_16_64 0
		.amdhsa_float_denorm_mode_32 3
		.amdhsa_float_denorm_mode_16_64 3
		.amdhsa_dx10_clamp 1
		.amdhsa_ieee_mode 1
		.amdhsa_fp16_overflow 0
		.amdhsa_workgroup_processor_mode 1
		.amdhsa_memory_ordered 1
		.amdhsa_forward_progress 0
		.amdhsa_shared_vgpr_count 0
		.amdhsa_exception_fp_ieee_invalid_op 0
		.amdhsa_exception_fp_denorm_src 0
		.amdhsa_exception_fp_ieee_div_zero 0
		.amdhsa_exception_fp_ieee_overflow 0
		.amdhsa_exception_fp_ieee_underflow 0
		.amdhsa_exception_fp_ieee_inexact 0
		.amdhsa_exception_int_div_zero 0
	.end_amdhsa_kernel
	.section	.text._ZL15flash_attn_tileILi192ELi128ELi2ELi8ELb0EEvPKcS1_S1_S1_S1_PKiPfP15HIP_vector_typeIfLj2EEffffjfiS5_IjLj3EEiiiiiiiiiiiliiliiiiil,"axG",@progbits,_ZL15flash_attn_tileILi192ELi128ELi2ELi8ELb0EEvPKcS1_S1_S1_S1_PKiPfP15HIP_vector_typeIfLj2EEffffjfiS5_IjLj3EEiiiiiiiiiiiliiliiiiil,comdat
.Lfunc_end13:
	.size	_ZL15flash_attn_tileILi192ELi128ELi2ELi8ELb0EEvPKcS1_S1_S1_S1_PKiPfP15HIP_vector_typeIfLj2EEffffjfiS5_IjLj3EEiiiiiiiiiiiliiliiiiil, .Lfunc_end13-_ZL15flash_attn_tileILi192ELi128ELi2ELi8ELb0EEvPKcS1_S1_S1_S1_PKiPfP15HIP_vector_typeIfLj2EEffffjfiS5_IjLj3EEiiiiiiiiiiiliiliiiiil
                                        ; -- End function
	.section	.AMDGPU.csdata,"",@progbits
; Kernel info:
; codeLenInByte = 10744
; NumSgprs: 42
; NumVgprs: 94
; ScratchSize: 0
; MemoryBound: 0
; FloatMode: 240
; IeeeMode: 1
; LDSByteSize: 11776 bytes/workgroup (compile time only)
; SGPRBlocks: 5
; VGPRBlocks: 11
; NumSGPRsForWavesPerEU: 42
; NumVGPRsForWavesPerEU: 94
; Occupancy: 16
; WaveLimiterHint : 1
; COMPUTE_PGM_RSRC2:SCRATCH_EN: 0
; COMPUTE_PGM_RSRC2:USER_SGPR: 13
; COMPUTE_PGM_RSRC2:TRAP_HANDLER: 0
; COMPUTE_PGM_RSRC2:TGID_X_EN: 1
; COMPUTE_PGM_RSRC2:TGID_Y_EN: 1
; COMPUTE_PGM_RSRC2:TGID_Z_EN: 1
; COMPUTE_PGM_RSRC2:TIDIG_COMP_CNT: 1
	.section	.text._ZL33flash_attn_stream_k_fixup_uniformILi128ELi2ELi8EEvPfPK15HIP_vector_typeIfLj2EEiiiiiiS1_IjLj3EES5_S5_,"axG",@progbits,_ZL33flash_attn_stream_k_fixup_uniformILi128ELi2ELi8EEvPfPK15HIP_vector_typeIfLj2EEiiiiiiS1_IjLj3EES5_S5_,comdat
	.globl	_ZL33flash_attn_stream_k_fixup_uniformILi128ELi2ELi8EEvPfPK15HIP_vector_typeIfLj2EEiiiiiiS1_IjLj3EES5_S5_ ; -- Begin function _ZL33flash_attn_stream_k_fixup_uniformILi128ELi2ELi8EEvPfPK15HIP_vector_typeIfLj2EEiiiiiiS1_IjLj3EES5_S5_
	.p2align	8
	.type	_ZL33flash_attn_stream_k_fixup_uniformILi128ELi2ELi8EEvPfPK15HIP_vector_typeIfLj2EEiiiiiiS1_IjLj3EES5_S5_,@function
_ZL33flash_attn_stream_k_fixup_uniformILi128ELi2ELi8EEvPfPK15HIP_vector_typeIfLj2EEiiiiiiS1_IjLj3EES5_S5_: ; @_ZL33flash_attn_stream_k_fixup_uniformILi128ELi2ELi8EEvPfPK15HIP_vector_typeIfLj2EEiiiiiiS1_IjLj3EES5_S5_
; %bb.0:
	s_clause 0x1
	s_load_b256 s[4:11], s[0:1], 0x1c
	s_load_b128 s[16:19], s[0:1], 0x3c
	s_waitcnt lgkmcnt(0)
	s_mul_hi_u32 s2, s7, s13
	s_delay_alu instid0(SALU_CYCLE_1) | instskip(NEXT) | instid1(SALU_CYCLE_1)
	s_add_i32 s2, s13, s2
	s_lshr_b32 s2, s2, s8
	s_delay_alu instid0(SALU_CYCLE_1) | instskip(SKIP_2) | instid1(SALU_CYCLE_1)
	s_mul_i32 s3, s2, s9
	s_load_b64 s[8:9], s[0:1], 0x10
	s_sub_i32 s7, s13, s3
	s_mul_hi_u32 s3, s7, s10
	s_delay_alu instid0(SALU_CYCLE_1) | instskip(NEXT) | instid1(SALU_CYCLE_1)
	s_add_i32 s3, s7, s3
	s_lshr_b32 s3, s3, s11
	s_delay_alu instid0(SALU_CYCLE_1) | instskip(NEXT) | instid1(SALU_CYCLE_1)
	s_mul_i32 s10, s3, s16
	s_sub_i32 s7, s7, s10
	s_delay_alu instid0(SALU_CYCLE_1) | instskip(NEXT) | instid1(SALU_CYCLE_1)
	s_mul_hi_u32 s10, s7, s17
	s_add_i32 s10, s7, s10
	s_delay_alu instid0(SALU_CYCLE_1) | instskip(NEXT) | instid1(SALU_CYCLE_1)
	s_lshr_b32 s10, s10, s18
	s_mul_i32 s11, s10, s19
	s_lshl_b32 s10, s10, 3
	s_sub_i32 s7, s7, s11
	s_delay_alu instid0(SALU_CYCLE_1) | instskip(NEXT) | instid1(SALU_CYCLE_1)
	s_lshl_b32 s11, s7, 1
	s_add_i32 s11, s11, s14
	s_waitcnt lgkmcnt(0)
	s_cmp_lt_i32 s11, s8
	s_cselect_b32 s11, -1, 0
	s_add_i32 s12, s10, s15
	s_delay_alu instid0(SALU_CYCLE_1) | instskip(SKIP_1) | instid1(SALU_CYCLE_1)
	s_cmp_lt_i32 s12, s5
	s_cselect_b32 s12, -1, 0
	s_and_b32 s11, s11, s12
	s_delay_alu instid0(SALU_CYCLE_1)
	s_and_not1_b32 vcc_lo, exec_lo, s11
	s_cbranch_vccnz .LBB14_6
; %bb.1:
	s_mul_i32 s2, s2, s8
	s_mul_i32 s5, s3, s5
	s_add_i32 s2, s2, s14
	s_mul_i32 s7, s9, s7
	s_mul_i32 s2, s2, s9
	s_lshl_b32 s7, s7, 8
	s_add_i32 s8, s2, s15
	s_load_b128 s[0:3], s[0:1], 0x0
	s_add_i32 s5, s8, s5
	s_lshl_b32 s9, s14, 3
	s_add_i32 s5, s5, s10
	s_delay_alu instid0(SALU_CYCLE_1) | instskip(NEXT) | instid1(SALU_CYCLE_1)
	s_lshl_b32 s5, s5, 7
	s_add_i32 s7, s7, s5
	s_mul_i32 s5, s13, s6
	v_or_b32_e32 v1, s7, v0
	s_add_i32 s10, s5, s6
	s_delay_alu instid0(VALU_DEP_1) | instskip(NEXT) | instid1(VALU_DEP_1)
	v_ashrrev_i32_e32 v2, 31, v1
	v_lshlrev_b64 v[1:2], 2, v[1:2]
	s_waitcnt lgkmcnt(0)
	s_delay_alu instid0(VALU_DEP_1) | instskip(NEXT) | instid1(VALU_DEP_2)
	v_add_co_u32 v1, vcc_lo, s0, v1
	v_add_co_ci_u32_e32 v2, vcc_lo, s1, v2, vcc_lo
	s_add_i32 s0, s9, s15
	s_lshl_b32 s1, s10, 4
	s_delay_alu instid0(SALU_CYCLE_1) | instskip(SKIP_2) | instid1(SALU_CYCLE_1)
	s_add_i32 s0, s0, s1
	global_load_b32 v5, v[1:2], off
	s_add_i32 s0, s0, -16
	s_ashr_i32 s1, s0, 31
	s_delay_alu instid0(SALU_CYCLE_1) | instskip(NEXT) | instid1(SALU_CYCLE_1)
	s_lshl_b64 s[0:1], s[0:1], 3
	s_add_u32 s0, s2, s0
	s_addc_u32 s1, s3, s1
	s_add_i32 s7, s10, -2
	s_load_b32 s11, s[0:1], 0x4
	s_cmp_lt_i32 s7, s5
	s_cbranch_scc1 .LBB14_4
; %bb.2:
	s_lshl_b32 s16, s4, 6
	s_load_b32 s12, s[0:1], 0x0
	s_ashr_i32 s17, s16, 31
	s_delay_alu instid0(SALU_CYCLE_1) | instskip(NEXT) | instid1(SALU_CYCLE_1)
	s_lshl_b64 s[0:1], s[16:17], 2
	s_add_u32 s7, s2, s0
	s_addc_u32 s8, s3, s1
	s_add_i32 s13, s13, 1
	s_lshl_b32 s0, s14, 10
	s_lshl_b32 s1, s15, 7
	s_mul_i32 s6, s6, s13
	s_add_i32 s0, s1, s0
	s_lshl_b32 s1, s6, 11
	s_delay_alu instid0(SALU_CYCLE_1)
	s_add_i32 s0, s0, s1
	s_lshl_b32 s1, s6, 4
	v_or_b32_e32 v0, s0, v0
	s_lshl_b32 s0, s4, 4
	s_add_i32 s1, s15, s1
	s_waitcnt lgkmcnt(0)
	v_mov_b32_e32 v6, s11
	s_add_i32 s0, s1, s0
	v_dual_mov_b32 v0, s12 :: v_dual_add_nc_u32 v3, 0xfffff000, v0
	s_add_i32 s0, s0, s9
	s_add_i32 s4, s10, -1
	s_sub_i32 s0, s0, 32
.LBB14_3:                               ; =>This Inner Loop Header: Depth=1
	s_delay_alu instid0(VALU_DEP_1) | instskip(SKIP_1) | instid1(SALU_CYCLE_1)
	v_ashrrev_i32_e32 v4, 31, v3
	s_ashr_i32 s1, s0, 31
	s_lshl_b64 s[10:11], s[0:1], 3
	s_delay_alu instid0(SALU_CYCLE_1) | instskip(NEXT) | instid1(VALU_DEP_1)
	s_add_u32 s10, s2, s10
	v_lshlrev_b64 v[7:8], 2, v[3:4]
	s_addc_u32 s11, s3, s11
	s_add_i32 s4, s4, -1
	s_add_i32 s0, s0, -16
	s_cmp_le_i32 s4, s5
	s_load_b64 s[10:11], s[10:11], 0x0
	v_add_co_u32 v7, vcc_lo, s7, v7
	v_add_co_ci_u32_e32 v8, vcc_lo, s8, v8, vcc_lo
	global_load_b32 v4, v[7:8], off
	v_max_f32_e32 v7, v0, v0
	s_waitcnt lgkmcnt(0)
	v_max_f32_e64 v8, s10, s10
	s_delay_alu instid0(VALU_DEP_1) | instskip(NEXT) | instid1(VALU_DEP_1)
	v_max_f32_e32 v7, v7, v8
	v_sub_f32_e32 v8, s10, v7
	s_delay_alu instid0(VALU_DEP_1) | instskip(NEXT) | instid1(VALU_DEP_1)
	v_dual_sub_f32 v0, v0, v7 :: v_dual_mul_f32 v9, 0x3fb8aa3b, v8
	v_fma_f32 v10, 0x3fb8aa3b, v8, -v9
	v_rndne_f32_e32 v11, v9
	s_delay_alu instid0(VALU_DEP_3) | instskip(NEXT) | instid1(VALU_DEP_2)
	v_mul_f32_e32 v12, 0x3fb8aa3b, v0
	v_dual_fmac_f32 v10, 0x32a5705f, v8 :: v_dual_sub_f32 v9, v9, v11
	v_cvt_i32_f32_e32 v11, v11
	s_delay_alu instid0(VALU_DEP_3) | instskip(SKIP_1) | instid1(VALU_DEP_4)
	v_fma_f32 v13, 0x3fb8aa3b, v0, -v12
	v_rndne_f32_e32 v14, v12
	v_add_f32_e32 v9, v9, v10
	v_cmp_ngt_f32_e32 vcc_lo, 0xc2ce8ed0, v8
	s_delay_alu instid0(VALU_DEP_3) | instskip(NEXT) | instid1(VALU_DEP_3)
	v_sub_f32_e32 v10, v12, v14
	v_exp_f32_e32 v9, v9
	s_waitcnt_depctr 0xfff
	v_ldexp_f32 v9, v9, v11
	v_cvt_i32_f32_e32 v11, v14
	s_delay_alu instid0(VALU_DEP_2) | instskip(SKIP_1) | instid1(VALU_DEP_2)
	v_cndmask_b32_e32 v9, 0, v9, vcc_lo
	v_cmp_nlt_f32_e32 vcc_lo, 0x42b17218, v8
	v_cndmask_b32_e32 v9, 0x7f800000, v9, vcc_lo
	v_cmp_ngt_f32_e32 vcc_lo, 0xc2ce8ed0, v0
	v_fmac_f32_e32 v13, 0x32a5705f, v0
	s_delay_alu instid0(VALU_DEP_1) | instskip(NEXT) | instid1(VALU_DEP_1)
	v_add_f32_e32 v10, v10, v13
	v_exp_f32_e32 v10, v10
	s_waitcnt_depctr 0xfff
	v_ldexp_f32 v10, v10, v11
	s_delay_alu instid0(VALU_DEP_1)
	v_dual_mov_b32 v11, v6 :: v_dual_cndmask_b32 v10, 0, v10
	v_cmp_le_f32_e32 vcc_lo, 0xc1a00000, v8
	s_waitcnt vmcnt(1)
	v_dual_cndmask_b32 v8, 0, v9 :: v_dual_mov_b32 v9, v5
	v_cmp_nlt_f32_e32 vcc_lo, 0x42b17218, v0
	v_cndmask_b32_e32 v5, 0x7f800000, v10, vcc_lo
	s_delay_alu instid0(VALU_DEP_3) | instskip(SKIP_2) | instid1(VALU_DEP_3)
	v_mul_f32_e32 v10, s11, v8
	v_cmp_le_f32_e32 vcc_lo, 0xc1a00000, v0
	v_mov_b32_e32 v0, v7
	v_mov_b32_e32 v6, v10
	s_waitcnt vmcnt(0)
	v_dual_cndmask_b32 v12, 0, v5 :: v_dual_mul_f32 v5, v4, v8
	s_delay_alu instid0(VALU_DEP_1) | instskip(NEXT) | instid1(VALU_DEP_2)
	v_dual_fmac_f32 v6, v11, v12 :: v_dual_add_nc_u32 v3, 0xfffff800, v3
	v_fmac_f32_e32 v5, v9, v12
	s_cbranch_scc0 .LBB14_3
	s_branch .LBB14_5
.LBB14_4:
	s_waitcnt lgkmcnt(0)
	v_mov_b32_e32 v6, s11
.LBB14_5:
	s_waitcnt vmcnt(0)
	s_delay_alu instid0(VALU_DEP_1) | instskip(NEXT) | instid1(VALU_DEP_1)
	v_div_scale_f32 v0, null, v6, v6, v5
	v_rcp_f32_e32 v3, v0
	s_waitcnt_depctr 0xfff
	v_fma_f32 v4, -v0, v3, 1.0
	s_delay_alu instid0(VALU_DEP_1) | instskip(SKIP_1) | instid1(VALU_DEP_1)
	v_fmac_f32_e32 v3, v4, v3
	v_div_scale_f32 v4, vcc_lo, v5, v6, v5
	v_mul_f32_e32 v7, v4, v3
	s_delay_alu instid0(VALU_DEP_1) | instskip(NEXT) | instid1(VALU_DEP_1)
	v_fma_f32 v8, -v0, v7, v4
	v_fmac_f32_e32 v7, v8, v3
	s_delay_alu instid0(VALU_DEP_1) | instskip(NEXT) | instid1(VALU_DEP_1)
	v_fma_f32 v0, -v0, v7, v4
	v_div_fmas_f32 v0, v0, v3, v7
	s_delay_alu instid0(VALU_DEP_1)
	v_div_fixup_f32 v0, v0, v6, v5
	global_store_b32 v[1:2], v0, off
.LBB14_6:
	s_nop 0
	s_sendmsg sendmsg(MSG_DEALLOC_VGPRS)
	s_endpgm
	.section	.rodata,"a",@progbits
	.p2align	6, 0x0
	.amdhsa_kernel _ZL33flash_attn_stream_k_fixup_uniformILi128ELi2ELi8EEvPfPK15HIP_vector_typeIfLj2EEiiiiiiS1_IjLj3EES5_S5_
		.amdhsa_group_segment_fixed_size 0
		.amdhsa_private_segment_fixed_size 0
		.amdhsa_kernarg_size 76
		.amdhsa_user_sgpr_count 13
		.amdhsa_user_sgpr_dispatch_ptr 0
		.amdhsa_user_sgpr_queue_ptr 0
		.amdhsa_user_sgpr_kernarg_segment_ptr 1
		.amdhsa_user_sgpr_dispatch_id 0
		.amdhsa_user_sgpr_private_segment_size 0
		.amdhsa_wavefront_size32 1
		.amdhsa_uses_dynamic_stack 0
		.amdhsa_enable_private_segment 0
		.amdhsa_system_sgpr_workgroup_id_x 1
		.amdhsa_system_sgpr_workgroup_id_y 1
		.amdhsa_system_sgpr_workgroup_id_z 1
		.amdhsa_system_sgpr_workgroup_info 0
		.amdhsa_system_vgpr_workitem_id 0
		.amdhsa_next_free_vgpr 15
		.amdhsa_next_free_sgpr 20
		.amdhsa_reserve_vcc 1
		.amdhsa_float_round_mode_32 0
		.amdhsa_float_round_mode_16_64 0
		.amdhsa_float_denorm_mode_32 3
		.amdhsa_float_denorm_mode_16_64 3
		.amdhsa_dx10_clamp 1
		.amdhsa_ieee_mode 1
		.amdhsa_fp16_overflow 0
		.amdhsa_workgroup_processor_mode 1
		.amdhsa_memory_ordered 1
		.amdhsa_forward_progress 0
		.amdhsa_shared_vgpr_count 0
		.amdhsa_exception_fp_ieee_invalid_op 0
		.amdhsa_exception_fp_denorm_src 0
		.amdhsa_exception_fp_ieee_div_zero 0
		.amdhsa_exception_fp_ieee_overflow 0
		.amdhsa_exception_fp_ieee_underflow 0
		.amdhsa_exception_fp_ieee_inexact 0
		.amdhsa_exception_int_div_zero 0
	.end_amdhsa_kernel
	.section	.text._ZL33flash_attn_stream_k_fixup_uniformILi128ELi2ELi8EEvPfPK15HIP_vector_typeIfLj2EEiiiiiiS1_IjLj3EES5_S5_,"axG",@progbits,_ZL33flash_attn_stream_k_fixup_uniformILi128ELi2ELi8EEvPfPK15HIP_vector_typeIfLj2EEiiiiiiS1_IjLj3EES5_S5_,comdat
.Lfunc_end14:
	.size	_ZL33flash_attn_stream_k_fixup_uniformILi128ELi2ELi8EEvPfPK15HIP_vector_typeIfLj2EEiiiiiiS1_IjLj3EES5_S5_, .Lfunc_end14-_ZL33flash_attn_stream_k_fixup_uniformILi128ELi2ELi8EEvPfPK15HIP_vector_typeIfLj2EEiiiiiiS1_IjLj3EES5_S5_
                                        ; -- End function
	.section	.AMDGPU.csdata,"",@progbits
; Kernel info:
; codeLenInByte = 996
; NumSgprs: 22
; NumVgprs: 15
; ScratchSize: 0
; MemoryBound: 0
; FloatMode: 240
; IeeeMode: 1
; LDSByteSize: 0 bytes/workgroup (compile time only)
; SGPRBlocks: 2
; VGPRBlocks: 1
; NumSGPRsForWavesPerEU: 22
; NumVGPRsForWavesPerEU: 15
; Occupancy: 16
; WaveLimiterHint : 0
; COMPUTE_PGM_RSRC2:SCRATCH_EN: 0
; COMPUTE_PGM_RSRC2:USER_SGPR: 13
; COMPUTE_PGM_RSRC2:TRAP_HANDLER: 0
; COMPUTE_PGM_RSRC2:TGID_X_EN: 1
; COMPUTE_PGM_RSRC2:TGID_Y_EN: 1
; COMPUTE_PGM_RSRC2:TGID_Z_EN: 1
; COMPUTE_PGM_RSRC2:TIDIG_COMP_CNT: 0
	.section	.text._ZL33flash_attn_stream_k_fixup_generalILi128ELi2ELi8EEvPfPK15HIP_vector_typeIfLj2EEiiiiS1_IjLj3EES5_S5_S5_,"axG",@progbits,_ZL33flash_attn_stream_k_fixup_generalILi128ELi2ELi8EEvPfPK15HIP_vector_typeIfLj2EEiiiiS1_IjLj3EES5_S5_S5_,comdat
	.globl	_ZL33flash_attn_stream_k_fixup_generalILi128ELi2ELi8EEvPfPK15HIP_vector_typeIfLj2EEiiiiS1_IjLj3EES5_S5_S5_ ; -- Begin function _ZL33flash_attn_stream_k_fixup_generalILi128ELi2ELi8EEvPfPK15HIP_vector_typeIfLj2EEiiiiS1_IjLj3EES5_S5_S5_
	.p2align	8
	.type	_ZL33flash_attn_stream_k_fixup_generalILi128ELi2ELi8EEvPfPK15HIP_vector_typeIfLj2EEiiiiS1_IjLj3EES5_S5_S5_,@function
_ZL33flash_attn_stream_k_fixup_generalILi128ELi2ELi8EEvPfPK15HIP_vector_typeIfLj2EEiiiiS1_IjLj3EES5_S5_S5_: ; @_ZL33flash_attn_stream_k_fixup_generalILi128ELi2ELi8EEvPfPK15HIP_vector_typeIfLj2EEiiiiS1_IjLj3EES5_S5_S5_
; %bb.0:
	s_clause 0x1
	s_load_b128 s[4:7], s[0:1], 0x10
	s_load_b32 s20, s[0:1], 0x50
	s_mov_b32 s2, 0
	s_waitcnt lgkmcnt(0)
	s_mul_hi_i32 s3, s7, s13
	s_mul_i32 s12, s7, s13
	s_cmp_lg_u64 s[2:3], 0
	s_cbranch_scc0 .LBB15_21
; %bb.1:
	v_cvt_f32_ubyte0_e32 v1, 0
	v_cvt_f32_u32_e32 v2, s20
	s_sub_u32 s10, 0, s20
	s_subb_u32 s11, 0, 0
	s_delay_alu instid0(VALU_DEP_1) | instskip(NEXT) | instid1(VALU_DEP_1)
	v_fmamk_f32 v1, v1, 0x4f800000, v2
	v_rcp_f32_e32 v1, v1
	s_waitcnt_depctr 0xfff
	v_mul_f32_e32 v1, 0x5f7ffffc, v1
	s_delay_alu instid0(VALU_DEP_1) | instskip(NEXT) | instid1(VALU_DEP_1)
	v_mul_f32_e32 v2, 0x2f800000, v1
	v_trunc_f32_e32 v2, v2
	s_delay_alu instid0(VALU_DEP_1) | instskip(SKIP_1) | instid1(VALU_DEP_2)
	v_fmamk_f32 v1, v2, 0xcf800000, v1
	v_cvt_u32_f32_e32 v2, v2
	v_cvt_u32_f32_e32 v1, v1
	s_delay_alu instid0(VALU_DEP_2) | instskip(NEXT) | instid1(VALU_DEP_2)
	v_readfirstlane_b32 s8, v2
	v_readfirstlane_b32 s9, v1
	s_delay_alu instid0(VALU_DEP_2) | instskip(NEXT) | instid1(VALU_DEP_1)
	s_mul_i32 s16, s10, s8
	s_mul_hi_u32 s18, s10, s9
	s_mul_i32 s17, s11, s9
	s_add_i32 s16, s18, s16
	s_mul_i32 s19, s10, s9
	s_add_i32 s16, s16, s17
	s_mul_hi_u32 s18, s9, s19
	s_mul_hi_u32 s21, s8, s19
	s_mul_i32 s17, s8, s19
	s_mul_hi_u32 s19, s9, s16
	s_mul_i32 s9, s9, s16
	s_mul_hi_u32 s22, s8, s16
	s_add_u32 s9, s18, s9
	s_addc_u32 s18, 0, s19
	s_add_u32 s9, s9, s17
	s_mul_i32 s16, s8, s16
	s_addc_u32 s9, s18, s21
	s_addc_u32 s17, s22, 0
	s_add_u32 s9, s9, s16
	s_addc_u32 s16, 0, s17
	v_add_co_u32 v1, s9, v1, s9
	s_delay_alu instid0(VALU_DEP_1) | instskip(SKIP_1) | instid1(VALU_DEP_1)
	s_cmp_lg_u32 s9, 0
	s_addc_u32 s8, s8, s16
	v_readfirstlane_b32 s9, v1
	s_mul_i32 s16, s10, s8
	s_delay_alu instid0(VALU_DEP_1)
	s_mul_hi_u32 s17, s10, s9
	s_mul_i32 s11, s11, s9
	s_add_i32 s16, s17, s16
	s_mul_i32 s10, s10, s9
	s_add_i32 s16, s16, s11
	s_mul_hi_u32 s17, s8, s10
	s_mul_i32 s18, s8, s10
	s_mul_hi_u32 s10, s9, s10
	s_mul_hi_u32 s19, s9, s16
	s_mul_i32 s9, s9, s16
	s_mul_hi_u32 s11, s8, s16
	s_add_u32 s9, s10, s9
	s_addc_u32 s10, 0, s19
	s_add_u32 s9, s9, s18
	s_mul_i32 s16, s8, s16
	s_addc_u32 s9, s10, s17
	s_addc_u32 s10, s11, 0
	s_add_u32 s9, s9, s16
	s_addc_u32 s10, 0, s10
	v_add_co_u32 v1, s9, v1, s9
	s_delay_alu instid0(VALU_DEP_1) | instskip(SKIP_2) | instid1(SALU_CYCLE_1)
	s_cmp_lg_u32 s9, 0
	s_addc_u32 s16, s8, s10
	s_ashr_i32 s8, s3, 31
	s_add_u32 s10, s12, s8
	s_addc_u32 s11, s3, s8
	v_readfirstlane_b32 s3, v1
	s_mov_b32 s9, s8
	s_delay_alu instid0(SALU_CYCLE_1) | instskip(NEXT) | instid1(SALU_CYCLE_1)
	s_xor_b64 s[10:11], s[10:11], s[8:9]
	s_mul_i32 s18, s10, s16
	s_delay_alu instid0(VALU_DEP_1)
	s_mul_hi_u32 s19, s10, s3
	s_mul_hi_u32 s17, s10, s16
	;; [unrolled: 1-line block ×3, first 2 shown]
	s_mul_i32 s3, s11, s3
	s_add_u32 s18, s19, s18
	s_addc_u32 s17, 0, s17
	s_mul_hi_u32 s21, s11, s16
	s_add_u32 s3, s18, s3
	s_mul_i32 s16, s11, s16
	s_addc_u32 s3, s17, s22
	s_addc_u32 s17, s21, 0
	s_add_u32 s3, s3, s16
	s_addc_u32 s16, 0, s17
	s_mul_i32 s18, s20, s3
	s_add_u32 s17, s3, 1
	v_sub_co_u32 v1, s10, s10, s18
	s_mul_hi_u32 s18, s20, s3
	s_addc_u32 s19, s16, 0
	s_mul_i32 s21, s20, s16
	s_delay_alu instid0(VALU_DEP_1)
	v_sub_co_u32 v2, s22, v1, s20
	s_add_u32 s23, s3, 2
	s_addc_u32 s24, s16, 0
	s_add_i32 s18, s18, s21
	s_cmp_lg_u32 s10, 0
	v_readfirstlane_b32 s10, v2
	s_subb_u32 s11, s11, s18
	s_cmp_lg_u32 s22, 0
	s_subb_u32 s18, s11, 0
	s_delay_alu instid0(VALU_DEP_1) | instskip(SKIP_4) | instid1(SALU_CYCLE_1)
	s_cmp_ge_u32 s10, s20
	s_cselect_b32 s10, -1, 0
	s_cmp_eq_u32 s18, 0
	v_readfirstlane_b32 s18, v1
	s_cselect_b32 s10, s10, -1
	s_cmp_lg_u32 s10, 0
	s_cselect_b32 s10, s23, s17
	s_cselect_b32 s17, s24, s19
	s_cmp_ge_u32 s18, s20
	s_cselect_b32 s18, -1, 0
	s_cmp_eq_u32 s11, 0
	s_cselect_b32 s11, s18, -1
	s_delay_alu instid0(SALU_CYCLE_1) | instskip(SKIP_2) | instid1(SALU_CYCLE_1)
	s_cmp_lg_u32 s11, 0
	s_cselect_b32 s11, s17, s16
	s_cselect_b32 s10, s10, s3
	s_xor_b64 s[10:11], s[10:11], s[8:9]
	s_delay_alu instid0(SALU_CYCLE_1)
	s_sub_u32 s16, s10, s8
	s_load_b128 s[8:11], s[0:1], 0x44
	s_and_not1_b32 vcc_lo, exec_lo, s2
	s_cbranch_vccnz .LBB15_3
.LBB15_2:
	v_cvt_f32_u32_e32 v1, s20
	s_sub_i32 s3, 0, s20
	s_delay_alu instid0(VALU_DEP_1) | instskip(SKIP_2) | instid1(VALU_DEP_1)
	v_rcp_iflag_f32_e32 v1, v1
	s_waitcnt_depctr 0xfff
	v_mul_f32_e32 v1, 0x4f7ffffe, v1
	v_cvt_u32_f32_e32 v1, v1
	s_delay_alu instid0(VALU_DEP_1) | instskip(NEXT) | instid1(VALU_DEP_1)
	v_readfirstlane_b32 s2, v1
	s_mul_i32 s3, s3, s2
	s_delay_alu instid0(SALU_CYCLE_1) | instskip(NEXT) | instid1(SALU_CYCLE_1)
	s_mul_hi_u32 s3, s2, s3
	s_add_i32 s2, s2, s3
	s_delay_alu instid0(SALU_CYCLE_1) | instskip(NEXT) | instid1(SALU_CYCLE_1)
	s_mul_hi_u32 s2, s12, s2
	s_mul_i32 s3, s2, s20
	s_waitcnt lgkmcnt(0)
	s_add_i32 s11, s2, 1
	s_sub_i32 s3, s12, s3
	s_delay_alu instid0(SALU_CYCLE_1)
	s_sub_i32 s12, s3, s20
	s_cmp_ge_u32 s3, s20
	s_cselect_b32 s2, s11, s2
	s_cselect_b32 s3, s12, s3
	s_add_i32 s11, s2, 1
	s_cmp_ge_u32 s3, s20
	s_cselect_b32 s16, s11, s2
.LBB15_3:
	s_waitcnt lgkmcnt(0)
	s_add_i32 s11, s13, 1
	s_mov_b32 s2, 0
	s_mul_hi_i32 s3, s7, s11
	s_mul_i32 s11, s7, s11
	s_cmp_lg_u64 s[2:3], 0
	s_cbranch_scc0 .LBB15_22
; %bb.4:
	v_cvt_f32_ubyte0_e32 v1, 0
	v_cvt_f32_u32_e32 v2, s20
	s_sub_u32 s18, 0, s20
	s_subb_u32 s19, 0, 0
	s_delay_alu instid0(VALU_DEP_1) | instskip(NEXT) | instid1(VALU_DEP_1)
	v_fmamk_f32 v1, v1, 0x4f800000, v2
	v_rcp_f32_e32 v1, v1
	s_waitcnt_depctr 0xfff
	v_mul_f32_e32 v1, 0x5f7ffffc, v1
	s_delay_alu instid0(VALU_DEP_1) | instskip(NEXT) | instid1(VALU_DEP_1)
	v_mul_f32_e32 v2, 0x2f800000, v1
	v_trunc_f32_e32 v2, v2
	s_delay_alu instid0(VALU_DEP_1) | instskip(SKIP_1) | instid1(VALU_DEP_2)
	v_fmamk_f32 v1, v2, 0xcf800000, v1
	v_cvt_u32_f32_e32 v2, v2
	v_cvt_u32_f32_e32 v1, v1
	s_delay_alu instid0(VALU_DEP_2) | instskip(NEXT) | instid1(VALU_DEP_2)
	v_readfirstlane_b32 s12, v2
	v_readfirstlane_b32 s17, v1
	s_delay_alu instid0(VALU_DEP_2) | instskip(NEXT) | instid1(VALU_DEP_1)
	s_mul_i32 s21, s18, s12
	s_mul_hi_u32 s23, s18, s17
	s_mul_i32 s22, s19, s17
	s_add_i32 s21, s23, s21
	s_mul_i32 s24, s18, s17
	s_add_i32 s21, s21, s22
	s_mul_hi_u32 s23, s17, s24
	s_mul_hi_u32 s25, s12, s24
	s_mul_i32 s22, s12, s24
	s_mul_hi_u32 s24, s17, s21
	s_mul_i32 s17, s17, s21
	s_mul_hi_u32 s26, s12, s21
	s_add_u32 s17, s23, s17
	s_addc_u32 s23, 0, s24
	s_add_u32 s17, s17, s22
	s_mul_i32 s21, s12, s21
	s_addc_u32 s17, s23, s25
	s_addc_u32 s22, s26, 0
	s_add_u32 s17, s17, s21
	s_addc_u32 s21, 0, s22
	v_add_co_u32 v1, s17, v1, s17
	s_delay_alu instid0(VALU_DEP_1) | instskip(SKIP_1) | instid1(VALU_DEP_1)
	s_cmp_lg_u32 s17, 0
	s_addc_u32 s12, s12, s21
	v_readfirstlane_b32 s17, v1
	s_mul_i32 s21, s18, s12
	s_delay_alu instid0(VALU_DEP_1)
	s_mul_hi_u32 s22, s18, s17
	s_mul_i32 s19, s19, s17
	s_add_i32 s21, s22, s21
	s_mul_i32 s18, s18, s17
	s_add_i32 s21, s21, s19
	s_mul_hi_u32 s22, s12, s18
	s_mul_i32 s23, s12, s18
	s_mul_hi_u32 s18, s17, s18
	s_mul_hi_u32 s24, s17, s21
	s_mul_i32 s17, s17, s21
	s_mul_hi_u32 s19, s12, s21
	s_add_u32 s17, s18, s17
	s_addc_u32 s18, 0, s24
	s_add_u32 s17, s17, s23
	s_mul_i32 s21, s12, s21
	s_addc_u32 s17, s18, s22
	s_addc_u32 s18, s19, 0
	s_add_u32 s17, s17, s21
	s_addc_u32 s18, 0, s18
	v_add_co_u32 v1, s17, v1, s17
	s_delay_alu instid0(VALU_DEP_1) | instskip(SKIP_2) | instid1(SALU_CYCLE_1)
	s_cmp_lg_u32 s17, 0
	s_addc_u32 s12, s12, s18
	s_ashr_i32 s18, s3, 31
	s_add_u32 s22, s11, s18
	s_addc_u32 s23, s3, s18
	v_readfirstlane_b32 s3, v1
	s_mov_b32 s19, s18
	s_delay_alu instid0(SALU_CYCLE_1) | instskip(NEXT) | instid1(SALU_CYCLE_1)
	s_xor_b64 s[22:23], s[22:23], s[18:19]
	s_mul_i32 s21, s22, s12
	s_delay_alu instid0(VALU_DEP_1)
	s_mul_hi_u32 s24, s22, s3
	s_mul_hi_u32 s17, s22, s12
	s_mul_hi_u32 s26, s23, s3
	s_mul_i32 s3, s23, s3
	s_add_u32 s21, s24, s21
	s_addc_u32 s17, 0, s17
	s_mul_hi_u32 s25, s23, s12
	s_add_u32 s3, s21, s3
	s_mul_i32 s12, s23, s12
	s_addc_u32 s3, s17, s26
	s_addc_u32 s17, s25, 0
	s_add_u32 s3, s3, s12
	s_addc_u32 s12, 0, s17
	s_mul_i32 s21, s20, s3
	s_add_u32 s17, s3, 1
	v_sub_co_u32 v1, s21, s22, s21
	s_mul_hi_u32 s22, s20, s3
	s_addc_u32 s24, s12, 0
	s_mul_i32 s25, s20, s12
	s_delay_alu instid0(VALU_DEP_1)
	v_sub_co_u32 v2, s26, v1, s20
	s_add_u32 s27, s3, 2
	s_addc_u32 s28, s12, 0
	s_add_i32 s22, s22, s25
	s_cmp_lg_u32 s21, 0
	v_readfirstlane_b32 s21, v2
	s_subb_u32 s22, s23, s22
	s_cmp_lg_u32 s26, 0
	s_subb_u32 s23, s22, 0
	s_delay_alu instid0(VALU_DEP_1) | instskip(SKIP_4) | instid1(SALU_CYCLE_1)
	s_cmp_ge_u32 s21, s20
	s_cselect_b32 s21, -1, 0
	s_cmp_eq_u32 s23, 0
	v_readfirstlane_b32 s23, v1
	s_cselect_b32 s21, s21, -1
	s_cmp_lg_u32 s21, 0
	s_cselect_b32 s17, s27, s17
	s_cselect_b32 s21, s28, s24
	s_cmp_ge_u32 s23, s20
	s_cselect_b32 s23, -1, 0
	s_cmp_eq_u32 s22, 0
	s_cselect_b32 s22, s23, -1
	s_delay_alu instid0(SALU_CYCLE_1) | instskip(SKIP_2) | instid1(SALU_CYCLE_1)
	s_cmp_lg_u32 s22, 0
	s_cselect_b32 s23, s21, s12
	s_cselect_b32 s22, s17, s3
	s_xor_b64 s[22:23], s[22:23], s[18:19]
	s_delay_alu instid0(SALU_CYCLE_1)
	s_sub_u32 s18, s22, s18
	s_and_not1_b32 vcc_lo, exec_lo, s2
	s_cbranch_vccnz .LBB15_6
.LBB15_5:
	v_cvt_f32_u32_e32 v1, s20
	s_sub_i32 s3, 0, s20
	s_delay_alu instid0(VALU_DEP_1) | instskip(SKIP_2) | instid1(VALU_DEP_1)
	v_rcp_iflag_f32_e32 v1, v1
	s_waitcnt_depctr 0xfff
	v_mul_f32_e32 v1, 0x4f7ffffe, v1
	v_cvt_u32_f32_e32 v1, v1
	s_delay_alu instid0(VALU_DEP_1) | instskip(NEXT) | instid1(VALU_DEP_1)
	v_readfirstlane_b32 s2, v1
	s_mul_i32 s3, s3, s2
	s_delay_alu instid0(SALU_CYCLE_1) | instskip(NEXT) | instid1(SALU_CYCLE_1)
	s_mul_hi_u32 s3, s2, s3
	s_add_i32 s2, s2, s3
	s_delay_alu instid0(SALU_CYCLE_1) | instskip(NEXT) | instid1(SALU_CYCLE_1)
	s_mul_hi_u32 s2, s11, s2
	s_mul_i32 s3, s2, s20
	s_delay_alu instid0(SALU_CYCLE_1)
	s_sub_i32 s3, s11, s3
	s_add_i32 s11, s2, 1
	s_sub_i32 s12, s3, s20
	s_cmp_ge_u32 s3, s20
	s_cselect_b32 s2, s11, s2
	s_cselect_b32 s3, s12, s3
	s_add_i32 s11, s2, 1
	s_cmp_ge_u32 s3, s20
	s_cselect_b32 s18, s11, s2
.LBB15_6:
	s_delay_alu instid0(SALU_CYCLE_1) | instskip(SKIP_3) | instid1(SALU_CYCLE_1)
	s_cmp_eq_u32 s16, s18
	s_mul_hi_u32 s2, s16, s8
	s_cselect_b32 s3, -1, 0
	s_add_i32 s2, s2, s16
	s_lshr_b32 s11, s2, s9
	s_delay_alu instid0(SALU_CYCLE_1) | instskip(NEXT) | instid1(SALU_CYCLE_1)
	s_mul_i32 s2, s11, s10
	s_cmp_eq_u32 s2, s16
	s_mul_hi_u32 s2, s18, s8
	s_cselect_b32 s12, -1, 0
	s_add_i32 s2, s2, s18
	s_delay_alu instid0(SALU_CYCLE_1) | instskip(NEXT) | instid1(SALU_CYCLE_1)
	s_lshr_b32 s2, s2, s9
	s_cmp_eq_u32 s11, s2
	s_mul_i32 s2, s2, s10
	s_cselect_b32 s17, -1, 0
	s_cmp_lg_u32 s2, s18
	s_cselect_b32 s2, -1, 0
	s_or_b32 s3, s3, s12
	s_and_b32 s2, s17, s2
	s_delay_alu instid0(SALU_CYCLE_1) | instskip(NEXT) | instid1(SALU_CYCLE_1)
	s_or_b32 s2, s3, s2
	s_and_b32 vcc_lo, exec_lo, s2
	s_cbranch_vccnz .LBB15_24
; %bb.7:
	s_load_b256 s[24:31], s[0:1], 0x20
	s_waitcnt lgkmcnt(0)
	s_mul_hi_u32 s2, s16, s24
	s_delay_alu instid0(SALU_CYCLE_1) | instskip(NEXT) | instid1(SALU_CYCLE_1)
	s_add_i32 s2, s2, s16
	s_lshr_b32 s17, s2, s25
	s_load_b32 s2, s[0:1], 0x40
	s_mul_i32 s3, s17, s26
	s_delay_alu instid0(SALU_CYCLE_1) | instskip(NEXT) | instid1(SALU_CYCLE_1)
	s_sub_i32 s3, s16, s3
	s_mul_hi_u32 s12, s3, s27
	s_delay_alu instid0(SALU_CYCLE_1) | instskip(NEXT) | instid1(SALU_CYCLE_1)
	s_add_i32 s12, s3, s12
	s_lshr_b32 s21, s12, s28
	s_delay_alu instid0(SALU_CYCLE_1) | instskip(NEXT) | instid1(SALU_CYCLE_1)
	s_mul_i32 s12, s21, s29
	s_sub_i32 s3, s3, s12
	s_delay_alu instid0(SALU_CYCLE_1) | instskip(NEXT) | instid1(SALU_CYCLE_1)
	s_mul_hi_u32 s12, s3, s30
	s_add_i32 s12, s3, s12
	s_delay_alu instid0(SALU_CYCLE_1)
	s_lshr_b32 s12, s12, s31
	s_waitcnt lgkmcnt(0)
	s_mul_i32 s2, s12, s2
	s_lshl_b32 s23, s12, 3
	s_sub_i32 s2, s3, s2
	s_mov_b32 s12, 0
	s_mul_hi_u32 s3, s2, s8
	s_delay_alu instid0(SALU_CYCLE_1) | instskip(NEXT) | instid1(SALU_CYCLE_1)
	s_add_i32 s2, s2, s3
	s_lshr_b32 s22, s2, s9
	s_delay_alu instid0(SALU_CYCLE_1) | instskip(NEXT) | instid1(SALU_CYCLE_1)
	s_lshl_b32 s2, s22, 1
	s_add_i32 s2, s2, s14
	s_delay_alu instid0(SALU_CYCLE_1) | instskip(SKIP_2) | instid1(SALU_CYCLE_1)
	s_cmp_lt_i32 s2, s4
	s_cselect_b32 s2, -1, 0
	s_add_i32 s3, s23, s15
	s_cmp_lt_i32 s3, s6
	s_cselect_b32 s3, -1, 0
	s_delay_alu instid0(SALU_CYCLE_1) | instskip(NEXT) | instid1(SALU_CYCLE_1)
	s_and_b32 s2, s2, s3
	s_and_not1_b32 vcc_lo, exec_lo, s2
	s_cbranch_vccnz .LBB15_24
; %bb.8:
	s_load_b128 s[0:3], s[0:1], 0x0
	s_lshl_b32 s18, s20, 6
	s_mov_b32 s19, s12
	s_lshl_b32 s24, s14, 3
	s_lshl_b64 s[18:19], s[18:19], 2
	s_mul_i32 s4, s17, s4
	s_add_i32 s17, s24, s15
	s_mul_i32 s21, s21, s6
	v_cvt_f32_ubyte0_e32 v4, 0
	v_cvt_f32_u32_e32 v5, s20
	s_waitcnt lgkmcnt(0)
	s_add_u32 s18, s2, s18
	s_addc_u32 s19, s3, s19
	s_add_i32 s4, s4, s14
	s_delay_alu instid0(SALU_CYCLE_1) | instskip(SKIP_4) | instid1(SALU_CYCLE_1)
	s_mul_i32 s4, s4, s5
	s_mul_i32 s5, s5, s22
	s_add_i32 s4, s4, s15
	s_lshl_b32 s5, s5, 8
	s_add_i32 s4, s4, s21
	s_add_i32 s4, s4, s23
	s_delay_alu instid0(SALU_CYCLE_1) | instskip(NEXT) | instid1(SALU_CYCLE_1)
	s_lshl_b32 s4, s4, 7
	s_add_i32 s5, s5, s4
	s_delay_alu instid0(SALU_CYCLE_1) | instskip(SKIP_1) | instid1(VALU_DEP_2)
	v_or_b32_e32 v1, s5, v0
	v_lshl_or_b32 v0, s17, 7, v0
	v_ashrrev_i32_e32 v2, 31, v1
	s_delay_alu instid0(VALU_DEP_1) | instskip(NEXT) | instid1(VALU_DEP_1)
	v_lshlrev_b64 v[1:2], 2, v[1:2]
	v_add_co_u32 v1, vcc_lo, s0, v1
	s_delay_alu instid0(VALU_DEP_2) | instskip(SKIP_1) | instid1(SALU_CYCLE_1)
	v_add_co_ci_u32_e32 v2, vcc_lo, s1, v2, vcc_lo
	s_lshl_b32 s0, s13, 4
	s_add_i32 s0, s17, s0
	global_load_b32 v3, v[1:2], off
	s_ashr_i32 s1, s0, 31
	s_delay_alu instid0(SALU_CYCLE_1) | instskip(NEXT) | instid1(SALU_CYCLE_1)
	s_lshl_b64 s[0:1], s[0:1], 3
	s_add_u32 s0, s2, s0
	s_addc_u32 s1, s3, s1
	s_add_i32 s14, s13, -1
	s_load_b64 s[0:1], s[0:1], 0x0
	v_fmac_f32_e32 v5, 0x4f800000, v4
	s_sub_i32 s6, 0, s20
	s_waitcnt lgkmcnt(0)
	v_mov_b32_e32 v8, s0
	s_delay_alu instid0(VALU_DEP_2) | instskip(SKIP_2) | instid1(VALU_DEP_2)
	v_rcp_f32_e32 v4, v5
	v_cvt_f32_u32_e32 v5, s20
	v_mov_b32_e32 v7, s1
	v_rcp_iflag_f32_e32 v5, v5
	s_waitcnt_depctr 0xfff
	v_mul_f32_e32 v4, 0x5f7ffffc, v4
	s_delay_alu instid0(VALU_DEP_1) | instskip(SKIP_1) | instid1(VALU_DEP_2)
	v_mul_f32_e32 v6, 0x2f800000, v4
	v_mul_f32_e32 v9, 0x4f7ffffe, v5
	v_trunc_f32_e32 v6, v6
	s_delay_alu instid0(VALU_DEP_1) | instskip(SKIP_1) | instid1(VALU_DEP_4)
	v_fmac_f32_e32 v4, 0xcf800000, v6
	v_cvt_u32_f32_e32 v5, v6
	v_cvt_u32_f32_e32 v6, v9
	s_delay_alu instid0(VALU_DEP_3)
	v_cvt_u32_f32_e32 v4, v4
.LBB15_9:                               ; =>This Inner Loop Header: Depth=1
	s_mul_hi_i32 s13, s14, s7
	s_mul_i32 s4, s14, s7
	s_cmp_lg_u64 s[12:13], 0
	s_mov_b32 s5, -1
                                        ; implicit-def: $sgpr0_sgpr1
	s_cbranch_scc0 .LBB15_11
; %bb.10:                               ;   in Loop: Header=BB15_9 Depth=1
	v_readfirstlane_b32 s0, v4
	v_readfirstlane_b32 s1, v5
	s_sub_u32 s5, 0, s20
	s_subb_u32 s15, 0, 0
	s_delay_alu instid0(VALU_DEP_2) | instskip(NEXT) | instid1(VALU_DEP_1)
	s_mul_hi_u32 s21, s5, s0
	s_mul_i32 s22, s5, s1
	s_mul_i32 s23, s15, s0
	s_add_i32 s21, s21, s22
	s_mul_i32 s22, s5, s0
	s_add_i32 s21, s21, s23
	s_mul_hi_u32 s23, s0, s22
	s_mul_i32 s24, s0, s21
	s_mul_hi_u32 s0, s0, s21
	s_add_u32 s23, s23, s24
	s_mul_i32 s25, s1, s22
	s_addc_u32 s0, 0, s0
	s_mul_hi_u32 s22, s1, s22
	s_mul_hi_u32 s24, s1, s21
	s_add_u32 s23, s23, s25
	s_addc_u32 s0, s0, s22
	s_mul_i32 s21, s1, s21
	s_addc_u32 s22, s24, 0
	s_add_u32 s0, s0, s21
	s_addc_u32 s21, 0, s22
	v_add_co_u32 v9, s0, v4, s0
	s_delay_alu instid0(VALU_DEP_1) | instskip(SKIP_1) | instid1(VALU_DEP_1)
	s_cmp_lg_u32 s0, 0
	s_addc_u32 s1, s1, s21
	v_readfirstlane_b32 s0, v9
	s_mul_i32 s21, s5, s1
	s_delay_alu instid0(VALU_DEP_1)
	s_mul_hi_u32 s22, s5, s0
	s_mul_i32 s15, s15, s0
	s_add_i32 s21, s22, s21
	s_mul_i32 s5, s5, s0
	s_add_i32 s21, s21, s15
	s_mul_hi_u32 s15, s1, s5
	s_mul_i32 s23, s1, s5
	s_mul_i32 s24, s0, s21
	s_mul_hi_u32 s5, s0, s5
	s_mul_hi_u32 s0, s0, s21
	s_add_u32 s5, s5, s24
	s_addc_u32 s0, 0, s0
	s_mul_hi_u32 s22, s1, s21
	s_add_u32 s5, s5, s23
	s_addc_u32 s0, s0, s15
	s_mul_i32 s5, s1, s21
	s_addc_u32 s15, s22, 0
	s_add_u32 s0, s0, s5
	s_addc_u32 s5, 0, s15
	v_add_co_u32 v9, s0, v9, s0
	s_delay_alu instid0(VALU_DEP_1) | instskip(SKIP_2) | instid1(SALU_CYCLE_1)
	s_cmp_lg_u32 s0, 0
	s_addc_u32 s5, s1, s5
	s_ashr_i32 s0, s13, 31
	s_add_u32 s22, s4, s0
	s_addc_u32 s23, s13, s0
	v_readfirstlane_b32 s13, v9
	s_mov_b32 s1, s0
	s_delay_alu instid0(SALU_CYCLE_1) | instskip(NEXT) | instid1(SALU_CYCLE_1)
	s_xor_b64 s[22:23], s[22:23], s[0:1]
	s_mul_i32 s15, s22, s5
	s_delay_alu instid0(VALU_DEP_1)
	s_mul_hi_u32 s21, s22, s13
	s_mul_hi_u32 s24, s22, s5
	s_add_u32 s15, s21, s15
	s_mul_i32 s25, s23, s13
	s_addc_u32 s21, 0, s24
	s_mul_hi_u32 s13, s23, s13
	s_mul_hi_u32 s24, s23, s5
	s_add_u32 s15, s15, s25
	s_addc_u32 s13, s21, s13
	s_mul_i32 s5, s23, s5
	s_addc_u32 s15, s24, 0
	s_add_u32 s5, s13, s5
	s_addc_u32 s13, 0, s15
	s_mul_i32 s21, s20, s5
	s_add_u32 s15, s5, 1
	v_sub_co_u32 v9, s21, s22, s21
	s_addc_u32 s22, s13, 0
	s_mul_i32 s25, s20, s13
	s_mul_hi_u32 s27, s20, s5
	s_delay_alu instid0(VALU_DEP_1)
	v_sub_co_u32 v10, s26, v9, s20
	s_add_u32 s24, s5, 2
	s_addc_u32 s28, s13, 0
	s_add_i32 s27, s27, s25
	s_cmp_lg_u32 s21, 0
	v_readfirstlane_b32 s21, v10
	s_subb_u32 s23, s23, s27
	s_cmp_lg_u32 s26, 0
	s_subb_u32 s25, s23, 0
	s_delay_alu instid0(VALU_DEP_1) | instskip(SKIP_4) | instid1(SALU_CYCLE_1)
	s_cmp_ge_u32 s21, s20
	s_cselect_b32 s21, -1, 0
	s_cmp_eq_u32 s25, 0
	v_readfirstlane_b32 s25, v9
	s_cselect_b32 s21, s21, -1
	s_cmp_lg_u32 s21, 0
	s_cselect_b32 s15, s24, s15
	s_cselect_b32 s21, s28, s22
	s_cmp_ge_u32 s25, s20
	s_cselect_b32 s22, -1, 0
	s_cmp_eq_u32 s23, 0
	s_cselect_b32 s22, s22, -1
	s_delay_alu instid0(SALU_CYCLE_1) | instskip(SKIP_4) | instid1(SALU_CYCLE_1)
	s_cmp_lg_u32 s22, 0
	s_cselect_b32 s23, s21, s13
	s_cselect_b32 s22, s15, s5
	s_mov_b32 s5, 0
	s_xor_b64 s[22:23], s[22:23], s[0:1]
	s_sub_u32 s0, s22, s0
.LBB15_11:                              ;   in Loop: Header=BB15_9 Depth=1
	s_and_not1_b32 vcc_lo, exec_lo, s5
	s_cbranch_vccnz .LBB15_13
; %bb.12:                               ;   in Loop: Header=BB15_9 Depth=1
	v_readfirstlane_b32 s0, v6
	s_delay_alu instid0(VALU_DEP_1) | instskip(NEXT) | instid1(SALU_CYCLE_1)
	s_mul_i32 s1, s6, s0
	s_mul_hi_u32 s1, s0, s1
	s_delay_alu instid0(SALU_CYCLE_1) | instskip(NEXT) | instid1(SALU_CYCLE_1)
	s_add_i32 s0, s0, s1
	s_mul_hi_u32 s0, s4, s0
	s_delay_alu instid0(SALU_CYCLE_1) | instskip(NEXT) | instid1(SALU_CYCLE_1)
	s_mul_i32 s1, s0, s20
	s_sub_i32 s1, s4, s1
	s_add_i32 s4, s0, 1
	s_sub_i32 s5, s1, s20
	s_cmp_ge_u32 s1, s20
	s_cselect_b32 s0, s4, s0
	s_cselect_b32 s1, s5, s1
	s_add_i32 s4, s0, 1
	s_cmp_ge_u32 s1, s20
	s_cselect_b32 s0, s4, s0
.LBB15_13:                              ;   in Loop: Header=BB15_9 Depth=1
	s_delay_alu instid0(SALU_CYCLE_1)
	s_cmp_lg_u32 s16, s0
	s_cbranch_scc0 .LBB15_17
; %bb.14:                               ;   in Loop: Header=BB15_9 Depth=1
	s_add_i32 s1, s14, s20
	s_mov_b32 s5, s12
	s_lshl_b32 s1, s1, 4
	s_mov_b32 s15, s16
	s_add_i32 s4, s1, s17
	s_mul_hi_u32 s1, s0, s8
	s_lshl_b64 s[4:5], s[4:5], 3
	s_delay_alu instid0(SALU_CYCLE_1) | instskip(SKIP_2) | instid1(SALU_CYCLE_1)
	s_add_u32 s4, s2, s4
	s_addc_u32 s5, s3, s5
	s_add_i32 s1, s1, s0
	s_lshr_b32 s1, s1, s9
	s_delay_alu instid0(SALU_CYCLE_1) | instskip(NEXT) | instid1(SALU_CYCLE_1)
	s_mul_i32 s13, s1, s10
	s_cmp_eq_u32 s13, s0
	s_cselect_b32 s13, -1, 0
	s_cmp_lt_u32 s1, s11
	s_cselect_b32 s1, -1, 0
	s_delay_alu instid0(SALU_CYCLE_1)
	s_or_b32 s1, s1, s13
	s_mov_b32 s13, -1
	s_and_b32 vcc_lo, exec_lo, s1
	s_mov_b32 s1, s14
	s_cbranch_vccnz .LBB15_16
; %bb.15:                               ;   in Loop: Header=BB15_9 Depth=1
	s_add_i32 s1, s14, -1
	s_mov_b32 s13, 0
	s_mov_b32 s15, s0
.LBB15_16:                              ;   in Loop: Header=BB15_9 Depth=1
	v_lshl_add_u32 v9, s14, 11, v0
	s_load_b64 s[4:5], s[4:5], 0x0
	s_delay_alu instid0(VALU_DEP_1) | instskip(NEXT) | instid1(VALU_DEP_1)
	v_ashrrev_i32_e32 v10, 31, v9
	v_lshlrev_b64 v[9:10], 2, v[9:10]
	s_delay_alu instid0(VALU_DEP_1) | instskip(NEXT) | instid1(VALU_DEP_2)
	v_add_co_u32 v9, vcc_lo, s18, v9
	v_add_co_ci_u32_e32 v10, vcc_lo, s19, v10, vcc_lo
	s_waitcnt lgkmcnt(0)
	v_max_f32_e64 v11, s4, s4
	global_load_b32 v10, v[9:10], off
	v_max_f32_e32 v9, v8, v8
	s_delay_alu instid0(VALU_DEP_1) | instskip(NEXT) | instid1(VALU_DEP_1)
	v_max_f32_e32 v9, v9, v11
	v_sub_f32_e32 v12, v8, v9
	s_delay_alu instid0(VALU_DEP_1) | instskip(NEXT) | instid1(VALU_DEP_1)
	v_dual_mul_f32 v14, 0x3fb8aa3b, v12 :: v_dual_sub_f32 v11, s4, v9
	v_rndne_f32_e32 v18, v14
	s_delay_alu instid0(VALU_DEP_2) | instskip(SKIP_2) | instid1(VALU_DEP_4)
	v_mul_f32_e32 v13, 0x3fb8aa3b, v11
	v_fma_f32 v17, 0x3fb8aa3b, v12, -v14
	v_cmp_ngt_f32_e32 vcc_lo, 0xc2ce8ed0, v11
	v_sub_f32_e32 v14, v14, v18
	s_delay_alu instid0(VALU_DEP_4) | instskip(SKIP_2) | instid1(VALU_DEP_3)
	v_fma_f32 v15, 0x3fb8aa3b, v11, -v13
	v_rndne_f32_e32 v16, v13
	v_fmac_f32_e32 v17, 0x32a5705f, v12
	v_fmac_f32_e32 v15, 0x32a5705f, v11
	s_delay_alu instid0(VALU_DEP_2) | instskip(NEXT) | instid1(VALU_DEP_1)
	v_dual_sub_f32 v13, v13, v16 :: v_dual_add_f32 v14, v14, v17
	v_add_f32_e32 v13, v13, v15
	s_delay_alu instid0(VALU_DEP_2) | instskip(SKIP_2) | instid1(VALU_DEP_3)
	v_exp_f32_e32 v14, v14
	v_cvt_i32_f32_e32 v15, v16
	v_cvt_i32_f32_e32 v16, v18
	v_exp_f32_e32 v13, v13
	s_waitcnt_depctr 0xfff
	v_ldexp_f32 v14, v14, v16
	v_ldexp_f32 v13, v13, v15
	s_delay_alu instid0(VALU_DEP_1) | instskip(SKIP_1) | instid1(VALU_DEP_4)
	v_cndmask_b32_e32 v13, 0, v13, vcc_lo
	v_cmp_ngt_f32_e32 vcc_lo, 0xc2ce8ed0, v12
	v_cndmask_b32_e32 v14, 0, v14, vcc_lo
	v_cmp_nlt_f32_e32 vcc_lo, 0x42b17218, v11
	s_delay_alu instid0(VALU_DEP_4) | instskip(SKIP_1) | instid1(VALU_DEP_4)
	v_cndmask_b32_e32 v13, 0x7f800000, v13, vcc_lo
	v_cmp_nlt_f32_e32 vcc_lo, 0x42b17218, v12
	v_cndmask_b32_e32 v14, 0x7f800000, v14, vcc_lo
	v_cmp_le_f32_e32 vcc_lo, 0xc1a00000, v11
	s_delay_alu instid0(VALU_DEP_4) | instskip(SKIP_1) | instid1(VALU_DEP_4)
	v_cndmask_b32_e32 v11, 0, v13, vcc_lo
	v_cmp_le_f32_e32 vcc_lo, 0xc1a00000, v12
	v_cndmask_b32_e32 v12, 0, v14, vcc_lo
	s_waitcnt vmcnt(0)
	s_delay_alu instid0(VALU_DEP_3) | instskip(NEXT) | instid1(VALU_DEP_1)
	v_mul_f32_e32 v10, v10, v11
	v_dual_mul_f32 v11, s5, v11 :: v_dual_fmac_f32 v10, v3, v12
	s_delay_alu instid0(VALU_DEP_1)
	v_fmac_f32_e32 v11, v7, v12
	s_cbranch_execz .LBB15_18
	s_branch .LBB15_19
.LBB15_17:                              ;   in Loop: Header=BB15_9 Depth=1
                                        ; implicit-def: $sgpr13
                                        ; implicit-def: $vgpr10
                                        ; implicit-def: $vgpr9
                                        ; implicit-def: $vgpr11
                                        ; implicit-def: $sgpr1
                                        ; implicit-def: $sgpr15
.LBB15_18:                              ;   in Loop: Header=BB15_9 Depth=1
	v_mov_b32_e32 v11, v7
	s_waitcnt vmcnt(0)
	v_dual_mov_b32 v9, v8 :: v_dual_mov_b32 v10, v3
	s_add_i32 s1, s14, -1
	s_mov_b32 s13, 0
	s_mov_b32 s15, s16
.LBB15_19:                              ;   in Loop: Header=BB15_9 Depth=1
	s_and_not1_b32 vcc_lo, exec_lo, s13
	s_cbranch_vccz .LBB15_23
; %bb.20:                               ;   in Loop: Header=BB15_9 Depth=1
	v_dual_mov_b32 v7, v11 :: v_dual_mov_b32 v8, v9
	s_waitcnt vmcnt(0)
	v_mov_b32_e32 v3, v10
	s_mov_b32 s16, s15
	s_mov_b32 s14, s1
	s_branch .LBB15_9
.LBB15_21:
                                        ; implicit-def: $sgpr16_sgpr17
	s_load_b128 s[8:11], s[0:1], 0x44
	s_branch .LBB15_2
.LBB15_22:
                                        ; implicit-def: $sgpr18_sgpr19
	s_branch .LBB15_5
.LBB15_23:
	v_div_scale_f32 v0, null, v11, v11, v10
	s_waitcnt vmcnt(0)
	s_delay_alu instid0(VALU_DEP_1) | instskip(SKIP_2) | instid1(VALU_DEP_1)
	v_rcp_f32_e32 v3, v0
	s_waitcnt_depctr 0xfff
	v_fma_f32 v4, -v0, v3, 1.0
	v_fmac_f32_e32 v3, v4, v3
	v_div_scale_f32 v4, vcc_lo, v10, v11, v10
	s_delay_alu instid0(VALU_DEP_1) | instskip(NEXT) | instid1(VALU_DEP_1)
	v_mul_f32_e32 v5, v4, v3
	v_fma_f32 v6, -v0, v5, v4
	s_delay_alu instid0(VALU_DEP_1) | instskip(NEXT) | instid1(VALU_DEP_1)
	v_fmac_f32_e32 v5, v6, v3
	v_fma_f32 v0, -v0, v5, v4
	s_delay_alu instid0(VALU_DEP_1) | instskip(NEXT) | instid1(VALU_DEP_1)
	v_div_fmas_f32 v0, v0, v3, v5
	v_div_fixup_f32 v0, v0, v11, v10
	global_store_b32 v[1:2], v0, off
.LBB15_24:
	s_nop 0
	s_sendmsg sendmsg(MSG_DEALLOC_VGPRS)
	s_endpgm
	.section	.rodata,"a",@progbits
	.p2align	6, 0x0
	.amdhsa_kernel _ZL33flash_attn_stream_k_fixup_generalILi128ELi2ELi8EEvPfPK15HIP_vector_typeIfLj2EEiiiiS1_IjLj3EES5_S5_S5_
		.amdhsa_group_segment_fixed_size 0
		.amdhsa_private_segment_fixed_size 0
		.amdhsa_kernarg_size 336
		.amdhsa_user_sgpr_count 13
		.amdhsa_user_sgpr_dispatch_ptr 0
		.amdhsa_user_sgpr_queue_ptr 0
		.amdhsa_user_sgpr_kernarg_segment_ptr 1
		.amdhsa_user_sgpr_dispatch_id 0
		.amdhsa_user_sgpr_private_segment_size 0
		.amdhsa_wavefront_size32 1
		.amdhsa_uses_dynamic_stack 0
		.amdhsa_enable_private_segment 0
		.amdhsa_system_sgpr_workgroup_id_x 1
		.amdhsa_system_sgpr_workgroup_id_y 1
		.amdhsa_system_sgpr_workgroup_id_z 1
		.amdhsa_system_sgpr_workgroup_info 0
		.amdhsa_system_vgpr_workitem_id 0
		.amdhsa_next_free_vgpr 19
		.amdhsa_next_free_sgpr 32
		.amdhsa_reserve_vcc 1
		.amdhsa_float_round_mode_32 0
		.amdhsa_float_round_mode_16_64 0
		.amdhsa_float_denorm_mode_32 3
		.amdhsa_float_denorm_mode_16_64 3
		.amdhsa_dx10_clamp 1
		.amdhsa_ieee_mode 1
		.amdhsa_fp16_overflow 0
		.amdhsa_workgroup_processor_mode 1
		.amdhsa_memory_ordered 1
		.amdhsa_forward_progress 0
		.amdhsa_shared_vgpr_count 0
		.amdhsa_exception_fp_ieee_invalid_op 0
		.amdhsa_exception_fp_denorm_src 0
		.amdhsa_exception_fp_ieee_div_zero 0
		.amdhsa_exception_fp_ieee_overflow 0
		.amdhsa_exception_fp_ieee_underflow 0
		.amdhsa_exception_fp_ieee_inexact 0
		.amdhsa_exception_int_div_zero 0
	.end_amdhsa_kernel
	.section	.text._ZL33flash_attn_stream_k_fixup_generalILi128ELi2ELi8EEvPfPK15HIP_vector_typeIfLj2EEiiiiS1_IjLj3EES5_S5_S5_,"axG",@progbits,_ZL33flash_attn_stream_k_fixup_generalILi128ELi2ELi8EEvPfPK15HIP_vector_typeIfLj2EEiiiiS1_IjLj3EES5_S5_S5_,comdat
.Lfunc_end15:
	.size	_ZL33flash_attn_stream_k_fixup_generalILi128ELi2ELi8EEvPfPK15HIP_vector_typeIfLj2EEiiiiS1_IjLj3EES5_S5_S5_, .Lfunc_end15-_ZL33flash_attn_stream_k_fixup_generalILi128ELi2ELi8EEvPfPK15HIP_vector_typeIfLj2EEiiiiS1_IjLj3EES5_S5_S5_
                                        ; -- End function
	.section	.AMDGPU.csdata,"",@progbits
; Kernel info:
; codeLenInByte = 3224
; NumSgprs: 34
; NumVgprs: 19
; ScratchSize: 0
; MemoryBound: 0
; FloatMode: 240
; IeeeMode: 1
; LDSByteSize: 0 bytes/workgroup (compile time only)
; SGPRBlocks: 4
; VGPRBlocks: 2
; NumSGPRsForWavesPerEU: 34
; NumVGPRsForWavesPerEU: 19
; Occupancy: 16
; WaveLimiterHint : 0
; COMPUTE_PGM_RSRC2:SCRATCH_EN: 0
; COMPUTE_PGM_RSRC2:USER_SGPR: 13
; COMPUTE_PGM_RSRC2:TRAP_HANDLER: 0
; COMPUTE_PGM_RSRC2:TGID_X_EN: 1
; COMPUTE_PGM_RSRC2:TGID_Y_EN: 1
; COMPUTE_PGM_RSRC2:TGID_Z_EN: 1
; COMPUTE_PGM_RSRC2:TIDIG_COMP_CNT: 0
	.section	.text._ZL15flash_attn_tileILi192ELi128ELi1ELi8ELb0EEvPKcS1_S1_S1_S1_PKiPfP15HIP_vector_typeIfLj2EEffffjfiS5_IjLj3EEiiiiiiiiiiiliiliiiiil,"axG",@progbits,_ZL15flash_attn_tileILi192ELi128ELi1ELi8ELb0EEvPKcS1_S1_S1_S1_PKiPfP15HIP_vector_typeIfLj2EEffffjfiS5_IjLj3EEiiiiiiiiiiiliiliiiiil,comdat
	.globl	_ZL15flash_attn_tileILi192ELi128ELi1ELi8ELb0EEvPKcS1_S1_S1_S1_PKiPfP15HIP_vector_typeIfLj2EEffffjfiS5_IjLj3EEiiiiiiiiiiiliiliiiiil ; -- Begin function _ZL15flash_attn_tileILi192ELi128ELi1ELi8ELb0EEvPKcS1_S1_S1_S1_PKiPfP15HIP_vector_typeIfLj2EEffffjfiS5_IjLj3EEiiiiiiiiiiiliiliiiiil
	.p2align	8
	.type	_ZL15flash_attn_tileILi192ELi128ELi1ELi8ELb0EEvPKcS1_S1_S1_S1_PKiPfP15HIP_vector_typeIfLj2EEffffjfiS5_IjLj3EEiiiiiiiiiiiliiliiiiil,@function
_ZL15flash_attn_tileILi192ELi128ELi1ELi8ELb0EEvPKcS1_S1_S1_S1_PKiPfP15HIP_vector_typeIfLj2EEffffjfiS5_IjLj3EEiiiiiiiiiiiliiliiiiil: ; @_ZL15flash_attn_tileILi192ELi128ELi1ELi8ELb0EEvPKcS1_S1_S1_S1_PKiPfP15HIP_vector_typeIfLj2EEffffjfiS5_IjLj3EEiiiiiiiiiiiliiliiiiil
; %bb.0:
	s_clause 0x1
	s_load_b128 s[4:7], s[0:1], 0x5c
	s_load_b64 s[34:35], s[0:1], 0x80
	s_mov_b64 s[36:37], 0
	s_waitcnt lgkmcnt(0)
	s_ashr_i32 s2, s7, 31
	s_delay_alu instid0(SALU_CYCLE_1) | instskip(NEXT) | instid1(SALU_CYCLE_1)
	s_lshr_b32 s2, s2, 29
	s_add_i32 s2, s7, s2
	s_delay_alu instid0(SALU_CYCLE_1) | instskip(NEXT) | instid1(SALU_CYCLE_1)
	s_ashr_i32 s2, s2, 3
	v_cvt_f32_u32_e32 v1, s2
	s_sub_i32 s8, 0, s2
	s_delay_alu instid0(VALU_DEP_1) | instskip(SKIP_2) | instid1(VALU_DEP_1)
	v_rcp_iflag_f32_e32 v1, v1
	s_waitcnt_depctr 0xfff
	v_mul_f32_e32 v1, 0x4f7ffffe, v1
	v_cvt_u32_f32_e32 v1, v1
	s_delay_alu instid0(VALU_DEP_1) | instskip(NEXT) | instid1(VALU_DEP_1)
	v_readfirstlane_b32 s3, v1
	s_mul_i32 s8, s8, s3
	s_delay_alu instid0(SALU_CYCLE_1) | instskip(NEXT) | instid1(SALU_CYCLE_1)
	s_mul_hi_u32 s8, s3, s8
	s_add_i32 s3, s3, s8
	s_delay_alu instid0(SALU_CYCLE_1) | instskip(NEXT) | instid1(SALU_CYCLE_1)
	s_mul_hi_u32 s3, s15, s3
	s_mul_i32 s8, s3, s2
	s_add_i32 s9, s3, 1
	s_sub_i32 s8, s15, s8
	s_delay_alu instid0(SALU_CYCLE_1)
	s_sub_i32 s10, s8, s2
	s_cmp_ge_u32 s8, s2
	s_cselect_b32 s3, s9, s3
	s_cselect_b32 s8, s10, s8
	s_add_i32 s9, s3, 1
	s_cmp_ge_u32 s8, s2
	s_cselect_b32 s12, s9, s3
	s_abs_i32 s2, s35
	s_abs_i32 s11, s7
	v_cvt_f32_u32_e32 v1, s2
	s_sub_i32 s8, 0, s2
	s_lshl_b32 s9, s15, 3
	s_mul_i32 s10, s12, s7
	s_delay_alu instid0(VALU_DEP_1) | instskip(SKIP_3) | instid1(VALU_DEP_1)
	v_rcp_iflag_f32_e32 v1, v1
	s_sub_i32 s15, s9, s10
	s_waitcnt_depctr 0xfff
	v_mul_f32_e32 v1, 0x4f7ffffe, v1
	v_cvt_u32_f32_e32 v1, v1
	s_delay_alu instid0(VALU_DEP_1) | instskip(NEXT) | instid1(VALU_DEP_1)
	v_readfirstlane_b32 s3, v1
	s_mul_i32 s8, s8, s3
	s_delay_alu instid0(SALU_CYCLE_1) | instskip(NEXT) | instid1(SALU_CYCLE_1)
	s_mul_hi_u32 s8, s3, s8
	s_add_i32 s3, s3, s8
	s_xor_b32 s8, s7, s35
	s_mul_hi_u32 s3, s11, s3
	s_ashr_i32 s8, s8, 31
	s_mul_i32 s9, s3, s2
	s_add_i32 s10, s3, 1
	s_sub_i32 s9, s11, s9
	s_delay_alu instid0(SALU_CYCLE_1)
	s_sub_i32 s11, s9, s2
	s_cmp_ge_u32 s9, s2
	s_cselect_b32 s3, s10, s3
	s_cselect_b32 s9, s11, s9
	s_add_i32 s10, s3, 1
	s_cmp_ge_u32 s9, s2
	s_cselect_b32 s2, s10, s3
	s_delay_alu instid0(SALU_CYCLE_1) | instskip(NEXT) | instid1(SALU_CYCLE_1)
	s_xor_b32 s2, s2, s8
	s_sub_i32 s35, s2, s8
	s_clause 0x1
	s_load_b512 s[16:31], s[0:1], 0x0
	s_load_b64 s[2:3], s[0:1], 0xb8
	s_abs_i32 s33, s35
	s_delay_alu instid0(SALU_CYCLE_1) | instskip(NEXT) | instid1(VALU_DEP_1)
	v_cvt_f32_u32_e32 v1, s33
	v_rcp_iflag_f32_e32 v1, v1
	s_waitcnt_depctr 0xfff
	v_mul_f32_e32 v1, 0x4f7ffffe, v1
	s_waitcnt lgkmcnt(0)
	s_cmp_eq_u64 s[22:23], 0
	s_delay_alu instid0(VALU_DEP_1) | instskip(NEXT) | instid1(VALU_DEP_1)
	v_cvt_u32_f32_e32 v1, v1
	v_readfirstlane_b32 s38, v1
	s_cbranch_scc1 .LBB16_2
; %bb.1:
	s_abs_i32 s2, s2
	s_abs_i32 s10, s12
	v_cvt_f32_u32_e32 v1, s2
	s_sub_i32 s9, 0, s2
	s_delay_alu instid0(VALU_DEP_1) | instskip(SKIP_2) | instid1(VALU_DEP_1)
	v_rcp_iflag_f32_e32 v1, v1
	s_waitcnt_depctr 0xfff
	v_mul_f32_e32 v1, 0x4f7ffffe, v1
	v_cvt_u32_f32_e32 v1, v1
	s_delay_alu instid0(VALU_DEP_1) | instskip(NEXT) | instid1(VALU_DEP_1)
	v_readfirstlane_b32 s8, v1
	s_mul_i32 s9, s9, s8
	s_delay_alu instid0(SALU_CYCLE_1) | instskip(NEXT) | instid1(SALU_CYCLE_1)
	s_mul_hi_u32 s9, s8, s9
	s_add_i32 s11, s8, s9
	s_load_b64 s[8:9], s[0:1], 0xc8
	s_mul_hi_u32 s11, s10, s11
	s_delay_alu instid0(SALU_CYCLE_1) | instskip(NEXT) | instid1(SALU_CYCLE_1)
	s_mul_i32 s11, s11, s2
	s_sub_i32 s10, s10, s11
	s_ashr_i32 s11, s12, 31
	s_sub_i32 s36, s10, s2
	s_cmp_ge_u32 s10, s2
	s_cselect_b32 s10, s36, s10
	s_delay_alu instid0(SALU_CYCLE_1) | instskip(SKIP_2) | instid1(SALU_CYCLE_1)
	s_sub_i32 s36, s10, s2
	s_cmp_ge_u32 s10, s2
	s_cselect_b32 s2, s36, s10
	s_xor_b32 s2, s2, s11
	s_delay_alu instid0(SALU_CYCLE_1)
	s_sub_i32 s2, s2, s11
	s_waitcnt lgkmcnt(0)
	s_mul_i32 s9, s2, s9
	s_mul_hi_u32 s10, s2, s8
	s_ashr_i32 s11, s2, 31
	s_add_i32 s9, s10, s9
	s_mul_i32 s11, s11, s8
	s_mul_i32 s2, s2, s8
	s_add_i32 s9, s9, s11
	s_add_u32 s36, s22, s2
	s_addc_u32 s37, s23, s9
.LBB16_2:
	v_bfe_u32 v4, v0, 10, 10
	s_load_b128 s[8:11], s[0:1], 0x70
	v_and_b32_e32 v0, 0x3ff, v0
	s_delay_alu instid0(VALU_DEP_2) | instskip(SKIP_2) | instid1(VALU_DEP_3)
	v_lshrrev_b32_e32 v1, 2, v4
	v_lshlrev_b32_e32 v5, 1, v4
	v_mul_u32_u24_e32 v16, 0xc0, v4
	v_add_nc_u32_e32 v1, s13, v1
	s_delay_alu instid0(VALU_DEP_3) | instskip(NEXT) | instid1(VALU_DEP_2)
	v_and_b32_e32 v18, 6, v5
	v_mul_hi_u32 v2, s4, v1
	s_waitcnt lgkmcnt(0)
	s_mul_i32 s2, s12, s10
	s_mul_i32 s4, s15, s9
	s_delay_alu instid0(VALU_DEP_1) | instskip(NEXT) | instid1(VALU_DEP_1)
	v_add_nc_u32_e32 v2, v1, v2
	v_lshrrev_b32_e32 v2, s5, v2
	s_ashr_i32 s5, s2, 31
	s_add_u32 s2, s16, s2
	s_addc_u32 s5, s17, s5
	s_ashr_i32 s10, s4, 31
	v_mul_lo_u32 v2, v2, s6
	s_add_u32 s2, s2, s4
	s_addc_u32 s4, s5, s10
	s_ashr_i32 s10, s8, 31
	s_ashr_i32 s5, s9, 31
	v_alignbit_b32 v7, s10, s8, 2
	v_alignbit_b32 v9, s5, s9, 2
	s_lshr_b32 s8, s10, 2
	v_sub_nc_u32_e32 v6, v1, v2
	s_delay_alu instid0(VALU_DEP_1) | instskip(NEXT) | instid1(VALU_DEP_3)
	v_mad_u64_u32 v[2:3], null, v7, v6, 0
	v_mad_u64_u32 v[7:8], null, v9, v18, 0
	s_delay_alu instid0(VALU_DEP_2) | instskip(SKIP_1) | instid1(VALU_DEP_1)
	v_mad_u64_u32 v[9:10], null, s8, v6, v[3:4]
	s_lshr_b32 s8, s5, 2
	v_mov_b32_e32 v3, v9
	s_delay_alu instid0(VALU_DEP_3) | instskip(SKIP_2) | instid1(VALU_DEP_3)
	v_mad_u64_u32 v[9:10], null, s8, v18, v[8:9]
	v_lshlrev_b32_e32 v10, 4, v0
	s_load_b32 s8, s[0:1], 0x40
	v_lshlrev_b64 v[2:3], 2, v[2:3]
	s_delay_alu instid0(VALU_DEP_3) | instskip(NEXT) | instid1(VALU_DEP_2)
	v_mov_b32_e32 v8, v9
	v_add_co_u32 v9, vcc_lo, s2, v2
	s_delay_alu instid0(VALU_DEP_3) | instskip(NEXT) | instid1(VALU_DEP_3)
	v_add_co_ci_u32_e32 v11, vcc_lo, s4, v3, vcc_lo
	v_lshlrev_b64 v[2:3], 2, v[7:8]
	s_delay_alu instid0(VALU_DEP_3) | instskip(NEXT) | instid1(VALU_DEP_3)
	v_add_co_u32 v8, vcc_lo, v9, v10
	v_add_co_ci_u32_e32 v9, vcc_lo, 0, v11, vcc_lo
	v_lshlrev_b32_e32 v7, 1, v0
	s_delay_alu instid0(VALU_DEP_3) | instskip(NEXT) | instid1(VALU_DEP_3)
	v_add_co_u32 v2, vcc_lo, v8, v2
	v_add_co_ci_u32_e32 v3, vcc_lo, v9, v3, vcc_lo
	v_cmp_gt_u32_e32 vcc_lo, 16, v0
	s_mov_b32 s4, s9
	s_delay_alu instid0(SALU_CYCLE_1)
	s_lshr_b64 s[4:5], s[4:5], 2
	global_load_b128 v[10:13], v[2:3], off
	s_waitcnt vmcnt(0) lgkmcnt(0)
	v_fma_mixlo_f16 v15, v12, s8, 0
	v_fma_mixlo_f16 v14, v10, s8, 0
	v_add_lshl_u32 v10, v16, v7, 2
	s_delay_alu instid0(VALU_DEP_3) | instskip(NEXT) | instid1(VALU_DEP_3)
	v_fma_mixhi_f16 v15, v13, s8, 0
	v_fma_mixhi_f16 v14, v11, s8, 0
	ds_store_b64 v10, v[14:15] offset:4608
	s_and_saveexec_b32 s2, vcc_lo
	s_cbranch_execz .LBB16_4
; %bb.3:
	global_load_b128 v[11:14], v[2:3], off offset:512
	v_add_nc_u32_e32 v10, 0x1200, v10
	s_waitcnt vmcnt(0)
	v_fma_mixlo_f16 v3, v13, s8, 0
	v_fma_mixlo_f16 v2, v11, s8, 0
	s_delay_alu instid0(VALU_DEP_2) | instskip(NEXT) | instid1(VALU_DEP_2)
	v_fma_mixhi_f16 v3, v14, s8, 0
	v_fma_mixhi_f16 v2, v12, s8, 0
	ds_store_b64 v10, v[2:3] offset:256
.LBB16_4:
	s_or_b32 exec_lo, exec_lo, s2
	v_or_b32_e32 v12, 1, v5
	s_delay_alu instid0(VALU_DEP_1) | instskip(SKIP_1) | instid1(VALU_DEP_2)
	v_and_b32_e32 v13, 7, v12
	v_mul_u32_u24_e32 v14, 0x60, v12
	v_mad_u64_u32 v[2:3], null, s4, v13, 0
	s_delay_alu instid0(VALU_DEP_1) | instskip(NEXT) | instid1(VALU_DEP_1)
	v_mad_u64_u32 v[10:11], null, s5, v13, v[3:4]
	v_mov_b32_e32 v3, v10
	s_delay_alu instid0(VALU_DEP_1) | instskip(NEXT) | instid1(VALU_DEP_1)
	v_lshlrev_b64 v[2:3], 2, v[2:3]
	v_add_co_u32 v2, s2, v8, v2
	s_delay_alu instid0(VALU_DEP_1)
	v_add_co_ci_u32_e64 v3, s2, v9, v3, s2
	global_load_b128 v[8:11], v[2:3], off
	s_waitcnt vmcnt(0)
	v_fma_mixlo_f16 v13, v10, s8, 0
	v_fma_mixlo_f16 v12, v8, s8, 0
	v_add_lshl_u32 v8, v14, v7, 2
	s_delay_alu instid0(VALU_DEP_3) | instskip(NEXT) | instid1(VALU_DEP_3)
	v_fma_mixhi_f16 v13, v11, s8, 0
	v_fma_mixhi_f16 v12, v9, s8, 0
	ds_store_b64 v8, v[12:13] offset:4608
	s_and_saveexec_b32 s2, vcc_lo
	s_cbranch_execz .LBB16_6
; %bb.5:
	global_load_b128 v[9:12], v[2:3], off offset:512
	v_add_nc_u32_e32 v8, 0x1200, v8
	s_waitcnt vmcnt(0)
	v_fma_mixlo_f16 v3, v11, s8, 0
	v_fma_mixlo_f16 v2, v9, s8, 0
	s_delay_alu instid0(VALU_DEP_2) | instskip(NEXT) | instid1(VALU_DEP_2)
	v_fma_mixhi_f16 v3, v12, s8, 0
	v_fma_mixhi_f16 v2, v10, s8, 0
	ds_store_b64 v8, v[2:3] offset:256
.LBB16_6:
	s_or_b32 exec_lo, exec_lo, s2
	s_cmp_eq_u64 s[26:27], 0
	s_waitcnt lgkmcnt(0)
	s_barrier
	buffer_gl0_inv
	s_cbranch_scc1 .LBB16_8
; %bb.7:
	s_load_b32 s2, s[0:1], 0xd0
	s_mov_b32 s5, 0
	s_waitcnt lgkmcnt(0)
	s_mul_i32 s2, s2, s12
	s_delay_alu instid0(SALU_CYCLE_1) | instskip(NEXT) | instid1(SALU_CYCLE_1)
	s_add_i32 s4, s2, s13
	s_lshl_b64 s[4:5], s[4:5], 2
	s_delay_alu instid0(SALU_CYCLE_1)
	s_add_u32 s4, s26, s4
	s_addc_u32 s5, s27, s5
	s_load_b32 s34, s[4:5], 0x0
.LBB16_8:
	v_mbcnt_lo_u32_b32 v20, -1, 0
	s_lshl_b32 s5, s14, 5
	s_waitcnt lgkmcnt(0)
	s_cmp_lt_i32 s5, s34
	s_cbranch_scc1 .LBB16_10
; %bb.9:
	v_mbcnt_lo_u32_b32 v8, -1, 0
	v_mov_b32_e32 v24, 32
	s_mov_b32 s2, 0
	s_mov_b32 s4, 0xfeffffff
	s_delay_alu instid0(VALU_DEP_2)
	v_xor_b32_e32 v29, 16, v8
	v_xor_b32_e32 v28, 8, v8
	;; [unrolled: 1-line block ×5, first 2 shown]
	s_branch .LBB16_11
.LBB16_10:
	s_mov_b32 s2, -1
                                        ; implicit-def: $sgpr4
                                        ; implicit-def: $vgpr8
                                        ; implicit-def: $vgpr24
                                        ; implicit-def: $vgpr29
                                        ; implicit-def: $vgpr28
                                        ; implicit-def: $vgpr27
                                        ; implicit-def: $vgpr26
                                        ; implicit-def: $vgpr25
.LBB16_11:
	s_delay_alu instid0(SALU_CYCLE_1) | instskip(SKIP_3) | instid1(VALU_DEP_4)
	v_cndmask_b32_e64 v2, 0, 1, s2
	v_dual_mov_b32 v3, s4 :: v_dual_mov_b32 v22, s2
	v_mov_b32_e32 v43, s2
	v_dual_mov_b32 v30, s2 :: v_dual_lshlrev_b32 v17, 2, v0
	v_cmp_ne_u32_e32 vcc_lo, 1, v2
	v_dual_mov_b32 v2, s4 :: v_dual_mov_b32 v23, s2
	v_mov_b32_e32 v21, s2
	v_mov_b32_e32 v19, s2
	s_cbranch_vccnz .LBB16_15
; %bb.12:
	s_clause 0x1
	s_load_b128 s[8:11], s[0:1], 0x98
	s_load_b64 s[16:17], s[0:1], 0x8c
	s_sub_i32 s2, 0, s33
	s_abs_i32 s4, s15
	s_mul_i32 s2, s2, s38
	s_ashr_i32 s27, s35, 31
	s_mul_hi_u32 s2, s38, s2
	s_ashr_i32 s35, s12, 31
	s_add_i32 s38, s38, s2
	s_ashr_i32 s2, s3, 1
	s_mul_hi_u32 s3, s4, s38
	v_lshrrev_b32_e32 v2, 3, v0
	v_lshrrev_b32_e32 v9, 4, v0
	s_ashr_i32 s26, s15, 31
	s_load_b64 s[22:23], s[0:1], 0xa8
	s_mul_i32 s38, s3, s33
	v_lshl_add_u32 v2, v4, 2, v2
	v_dual_mov_b32 v24, 32 :: v_dual_add_nc_u32 v5, v9, v5
	v_and_b32_e32 v3, 28, v17
	s_waitcnt lgkmcnt(0)
	s_mul_i32 s9, s12, s9
	s_ashr_i32 s13, s16, 2
	s_mul_hi_u32 s16, s12, s8
	s_mul_i32 s39, s35, s8
	s_add_i32 s9, s16, s9
	s_mul_i32 s8, s12, s8
	s_ashr_i32 s10, s10, 2
	s_add_i32 s9, s9, s39
	s_add_u32 s8, s18, s8
	s_addc_u32 s9, s19, s9
	s_sub_i32 s4, s4, s38
	s_xor_b32 s16, s26, s27
	s_add_i32 s18, s3, 1
	s_sub_i32 s19, s4, s33
	s_cmp_ge_u32 s4, s33
	v_mul_lo_u32 v8, s13, v2
	s_cselect_b32 s3, s18, s3
	s_cselect_b32 s4, s19, s4
	v_mul_lo_u32 v12, s10, v5
	s_add_i32 s18, s3, 1
	s_cmp_ge_u32 s4, s33
	v_dual_mov_b32 v19, 0 :: v_dual_lshlrev_b32 v10, 2, v3
	s_cselect_b32 s3, s18, s3
	v_dual_mov_b32 v21, 0 :: v_dual_and_b32 v16, 60, v17
	s_xor_b32 s3, s3, s16
	s_delay_alu instid0(VALU_DEP_2)
	v_mad_u32_u24 v31, 0x90, v2, v10
	s_sub_i32 s3, s3, s16
	v_lshl_add_u32 v10, s13, 4, v8
	v_lshl_add_u32 v14, s10, 3, v12
	v_lshlrev_b32_e32 v2, 2, v16
	s_mul_i32 s16, s3, s17
	s_mul_i32 s4, s12, s23
	s_mul_hi_u32 s18, s12, s22
	s_ashr_i32 s17, s16, 31
	s_add_u32 s16, s8, s16
	v_ashrrev_i32_e32 v9, 31, v8
	v_ashrrev_i32_e32 v11, 31, v10
	v_lshl_add_u32 v35, v4, 7, 0x1e00
	v_ashrrev_i32_e32 v13, 31, v12
	v_ashrrev_i32_e32 v15, 31, v14
	s_mul_i32 s35, s35, s22
	s_addc_u32 s17, s9, s17
	s_add_i32 s4, s18, s4
	v_lshl_or_b32 v36, v5, 8, v2
	v_dual_mov_b32 v22, 0 :: v_dual_lshlrev_b32 v39, 2, v7
	s_mul_i32 s8, s12, s22
	s_add_i32 s4, s4, s35
	s_mul_i32 s3, s3, s11
	v_mul_u32_u24_e32 v34, 0x300, v4
	v_mad_u64_u32 v[4:5], null, v6, s2, v[0:1]
	s_add_u32 s8, s20, s8
	s_addc_u32 s4, s21, s4
	s_ashr_i32 s9, s3, 31
	v_lshl_add_u32 v37, v7, 1, v35
	v_lshlrev_b64 v[5:6], 2, v[8:9]
	v_lshlrev_b64 v[7:8], 2, v[10:11]
	;; [unrolled: 1-line block ×4, first 2 shown]
	s_add_u32 s11, s8, s3
	v_dual_mov_b32 v23, 0 :: v_dual_add_nc_u32 v32, 0x900, v31
	v_mul_u32_u24_e32 v33, 0x90, v0
	v_dual_mov_b32 v43, 0 :: v_dual_add_nc_u32 v38, 0x800, v36
	v_mov_b32_e32 v2, 0xfeffffff
	v_lshlrev_b32_e32 v40, 2, v3
	v_xor_b32_e32 v29, 16, v20
	v_xor_b32_e32 v28, 8, v20
	;; [unrolled: 1-line block ×5, first 2 shown]
	v_dual_mov_b32 v30, 0 :: v_dual_lshlrev_b32 v41, 2, v16
	v_add_nc_u32_e32 v42, 0x800, v39
	v_mov_b32_e32 v3, 0xfeffffff
	s_addc_u32 s18, s4, s9
	s_add_u32 s8, s0, 0xd0
	s_addc_u32 s9, s1, 0
.LBB16_13:                              ; =>This Inner Loop Header: Depth=1
	s_mul_hi_i32 s3, s5, s13
	s_mul_i32 s2, s5, s13
	v_mov_b32_e32 v96, v43
	s_lshl_b64 s[2:3], s[2:3], 2
	v_mov_b32_e32 v45, 0
	s_add_u32 s2, s16, s2
	s_addc_u32 s3, s17, s3
	v_add_co_u32 v13, vcc_lo, s2, v7
	v_add_co_u32 v14, s2, s2, v5
	s_delay_alu instid0(VALU_DEP_1) | instskip(SKIP_1) | instid1(VALU_DEP_3)
	v_add_co_ci_u32_e64 v16, s2, s3, v6, s2
	v_add_co_ci_u32_e32 v44, vcc_lo, s3, v8, vcc_lo
	v_add_co_u32 v15, s2, v14, v40
	v_add_co_u32 v13, vcc_lo, v13, v40
	s_delay_alu instid0(VALU_DEP_4) | instskip(NEXT) | instid1(VALU_DEP_4)
	v_add_co_ci_u32_e64 v16, s2, 0, v16, s2
	v_add_co_ci_u32_e32 v14, vcc_lo, 0, v44, vcc_lo
	s_clause 0x1
	global_load_b128 v[46:49], v[15:16], off
	global_load_b128 v[50:53], v[13:14], off
	v_mov_b32_e32 v44, 0
	s_mul_hi_i32 s3, s5, s10
	s_mul_i32 s2, s5, s10
	s_waitcnt vmcnt(1)
	ds_store_b128 v31, v[46:49]
	s_waitcnt vmcnt(0)
	ds_store_b128 v32, v[50:53]
	s_waitcnt lgkmcnt(0)
	s_barrier
	buffer_gl0_inv
	ds_load_b128 v[46:49], v33
	ds_load_b128 v[50:53], v34 offset:4608
	ds_load_b128 v[54:57], v34 offset:4992
	s_lshl_b64 s[2:3], s[2:3], 2
	s_waitcnt lgkmcnt(1)
	;;#ASMSTART
	v_dot2_f32_f16 v44, v46, v50, v44
	;;#ASMEND
	;;#ASMSTART
	v_dot2_f32_f16 v44, v47, v51, v44
	;;#ASMEND
	;; [unrolled: 3-line block ×4, first 2 shown]
	s_waitcnt lgkmcnt(0)
	;;#ASMSTART
	v_dot2_f32_f16 v45, v46, v54, v45
	;;#ASMEND
	;;#ASMSTART
	v_dot2_f32_f16 v45, v47, v55, v45
	;;#ASMEND
	;; [unrolled: 3-line block ×4, first 2 shown]
	ds_load_b128 v[46:49], v33 offset:16
	ds_load_b128 v[50:53], v34 offset:4624
	;; [unrolled: 1-line block ×3, first 2 shown]
	s_add_u32 s2, s11, s2
	s_addc_u32 s4, s18, s3
	s_or_b32 s19, s5, 16
	s_waitcnt lgkmcnt(1)
	;;#ASMSTART
	v_dot2_f32_f16 v44, v46, v50, v44
	;;#ASMEND
	;;#ASMSTART
	v_dot2_f32_f16 v44, v47, v51, v44
	;;#ASMEND
	;; [unrolled: 3-line block ×4, first 2 shown]
	s_waitcnt lgkmcnt(0)
	;;#ASMSTART
	v_dot2_f32_f16 v45, v46, v54, v45
	;;#ASMEND
	;;#ASMSTART
	v_dot2_f32_f16 v45, v47, v55, v45
	;;#ASMEND
	;; [unrolled: 3-line block ×4, first 2 shown]
	ds_load_b128 v[46:49], v33 offset:32
	ds_load_b128 v[50:53], v34 offset:4640
	;; [unrolled: 1-line block ×3, first 2 shown]
	s_mul_hi_i32 s3, s19, s10
	s_waitcnt lgkmcnt(1)
	;;#ASMSTART
	v_dot2_f32_f16 v44, v46, v50, v44
	;;#ASMEND
	;;#ASMSTART
	v_dot2_f32_f16 v44, v47, v51, v44
	;;#ASMEND
	;;#ASMSTART
	v_dot2_f32_f16 v44, v48, v52, v44
	;;#ASMEND
	;;#ASMSTART
	v_dot2_f32_f16 v44, v49, v53, v44
	;;#ASMEND
	s_waitcnt lgkmcnt(0)
	;;#ASMSTART
	v_dot2_f32_f16 v45, v46, v54, v45
	;;#ASMEND
	;;#ASMSTART
	v_dot2_f32_f16 v45, v47, v55, v45
	;;#ASMEND
	;;#ASMSTART
	v_dot2_f32_f16 v45, v48, v56, v45
	;;#ASMEND
	;;#ASMSTART
	v_dot2_f32_f16 v45, v49, v57, v45
	;;#ASMEND
	ds_load_b128 v[46:49], v33 offset:48
	ds_load_b128 v[50:53], v34 offset:4656
	ds_load_b128 v[54:57], v34 offset:5040
	s_waitcnt lgkmcnt(1)
	;;#ASMSTART
	v_dot2_f32_f16 v44, v46, v50, v44
	;;#ASMEND
	;;#ASMSTART
	v_dot2_f32_f16 v44, v47, v51, v44
	;;#ASMEND
	;;#ASMSTART
	v_dot2_f32_f16 v44, v48, v52, v44
	;;#ASMEND
	;;#ASMSTART
	v_dot2_f32_f16 v44, v49, v53, v44
	;;#ASMEND
	s_waitcnt lgkmcnt(0)
	;;#ASMSTART
	v_dot2_f32_f16 v45, v46, v54, v45
	;;#ASMEND
	;;#ASMSTART
	v_dot2_f32_f16 v45, v47, v55, v45
	;;#ASMEND
	;;#ASMSTART
	v_dot2_f32_f16 v45, v48, v56, v45
	;;#ASMEND
	;;#ASMSTART
	v_dot2_f32_f16 v45, v49, v57, v45
	;;#ASMEND
	ds_load_b128 v[46:49], v33 offset:64
	ds_load_b128 v[50:53], v34 offset:4672
	ds_load_b128 v[54:57], v34 offset:5056
	;; [unrolled: 29-line block ×5, first 2 shown]
	s_waitcnt lgkmcnt(1)
	;;#ASMSTART
	v_dot2_f32_f16 v44, v46, v50, v44
	;;#ASMEND
	;;#ASMSTART
	v_dot2_f32_f16 v44, v47, v51, v44
	;;#ASMEND
	;; [unrolled: 3-line block ×4, first 2 shown]
	s_waitcnt lgkmcnt(0)
	;;#ASMSTART
	v_dot2_f32_f16 v45, v46, v54, v45
	;;#ASMEND
	;;#ASMSTART
	v_dot2_f32_f16 v45, v47, v55, v45
	;;#ASMEND
	;;#ASMSTART
	v_dot2_f32_f16 v45, v48, v56, v45
	;;#ASMEND
	;;#ASMSTART
	v_dot2_f32_f16 v45, v49, v57, v45
	;;#ASMEND
	s_barrier
	buffer_gl0_inv
	s_clause 0x1
	global_load_b128 v[46:49], v[15:16], off offset:128
	global_load_b128 v[50:53], v[13:14], off offset:128
	s_waitcnt vmcnt(1)
	ds_store_b128 v31, v[46:49]
	s_waitcnt vmcnt(0)
	ds_store_b128 v32, v[50:53]
	s_waitcnt lgkmcnt(0)
	s_barrier
	buffer_gl0_inv
	ds_load_b128 v[46:49], v33
	ds_load_b128 v[50:53], v34 offset:4736
	ds_load_b128 v[54:57], v34 offset:5120
	s_waitcnt lgkmcnt(1)
	;;#ASMSTART
	v_dot2_f32_f16 v44, v46, v50, v44
	;;#ASMEND
	;;#ASMSTART
	v_dot2_f32_f16 v44, v47, v51, v44
	;;#ASMEND
	;;#ASMSTART
	v_dot2_f32_f16 v44, v48, v52, v44
	;;#ASMEND
	;;#ASMSTART
	v_dot2_f32_f16 v44, v49, v53, v44
	;;#ASMEND
	s_waitcnt lgkmcnt(0)
	;;#ASMSTART
	v_dot2_f32_f16 v45, v46, v54, v45
	;;#ASMEND
	;;#ASMSTART
	v_dot2_f32_f16 v45, v47, v55, v45
	;;#ASMEND
	;;#ASMSTART
	v_dot2_f32_f16 v45, v48, v56, v45
	;;#ASMEND
	;;#ASMSTART
	v_dot2_f32_f16 v45, v49, v57, v45
	;;#ASMEND
	ds_load_b128 v[46:49], v33 offset:16
	ds_load_b128 v[50:53], v34 offset:4752
	ds_load_b128 v[54:57], v34 offset:5136
	s_waitcnt lgkmcnt(1)
	;;#ASMSTART
	v_dot2_f32_f16 v44, v46, v50, v44
	;;#ASMEND
	;;#ASMSTART
	v_dot2_f32_f16 v44, v47, v51, v44
	;;#ASMEND
	;;#ASMSTART
	v_dot2_f32_f16 v44, v48, v52, v44
	;;#ASMEND
	;;#ASMSTART
	v_dot2_f32_f16 v44, v49, v53, v44
	;;#ASMEND
	s_waitcnt lgkmcnt(0)
	;;#ASMSTART
	v_dot2_f32_f16 v45, v46, v54, v45
	;;#ASMEND
	;;#ASMSTART
	v_dot2_f32_f16 v45, v47, v55, v45
	;;#ASMEND
	;;#ASMSTART
	v_dot2_f32_f16 v45, v48, v56, v45
	;;#ASMEND
	;;#ASMSTART
	v_dot2_f32_f16 v45, v49, v57, v45
	;;#ASMEND
	ds_load_b128 v[46:49], v33 offset:32
	;; [unrolled: 29-line block ×7, first 2 shown]
	ds_load_b128 v[50:53], v34 offset:4848
	ds_load_b128 v[54:57], v34 offset:5232
	s_waitcnt lgkmcnt(1)
	;;#ASMSTART
	v_dot2_f32_f16 v44, v46, v50, v44
	;;#ASMEND
	;;#ASMSTART
	v_dot2_f32_f16 v44, v47, v51, v44
	;;#ASMEND
	;; [unrolled: 3-line block ×4, first 2 shown]
	s_waitcnt lgkmcnt(0)
	;;#ASMSTART
	v_dot2_f32_f16 v45, v46, v54, v45
	;;#ASMEND
	;;#ASMSTART
	v_dot2_f32_f16 v45, v47, v55, v45
	;;#ASMEND
	;; [unrolled: 3-line block ×4, first 2 shown]
	s_barrier
	buffer_gl0_inv
	s_clause 0x1
	global_load_b128 v[46:49], v[15:16], off offset:256
	global_load_b128 v[13:16], v[13:14], off offset:256
	v_add_nc_u32_e32 v50, s5, v4
	s_waitcnt vmcnt(1)
	ds_store_b128 v31, v[46:49]
	s_waitcnt vmcnt(0)
	ds_store_b128 v32, v[13:16]
	v_ashrrev_i32_e32 v51, 31, v50
	s_waitcnt lgkmcnt(0)
	s_barrier
	buffer_gl0_inv
	v_lshlrev_b64 v[50:51], 1, v[50:51]
	s_delay_alu instid0(VALU_DEP_1) | instskip(NEXT) | instid1(VALU_DEP_2)
	v_add_co_u32 v54, vcc_lo, s36, v50
	v_add_co_ci_u32_e32 v55, vcc_lo, s37, v51, vcc_lo
	ds_load_b128 v[13:16], v33
	ds_load_b128 v[46:49], v34 offset:4864
	ds_load_b128 v[50:53], v34 offset:5248
	s_waitcnt lgkmcnt(1)
	;;#ASMSTART
	v_dot2_f32_f16 v44, v13, v46, v44
	;;#ASMEND
	;;#ASMSTART
	v_dot2_f32_f16 v44, v14, v47, v44
	;;#ASMEND
	;;#ASMSTART
	v_dot2_f32_f16 v44, v15, v48, v44
	;;#ASMEND
	;;#ASMSTART
	v_dot2_f32_f16 v44, v16, v49, v44
	;;#ASMEND
	s_waitcnt lgkmcnt(0)
	;;#ASMSTART
	v_dot2_f32_f16 v45, v13, v50, v45
	;;#ASMEND
	;;#ASMSTART
	v_dot2_f32_f16 v45, v14, v51, v45
	;;#ASMEND
	;;#ASMSTART
	v_dot2_f32_f16 v45, v15, v52, v45
	;;#ASMEND
	;;#ASMSTART
	v_dot2_f32_f16 v45, v16, v53, v45
	;;#ASMEND
	ds_load_b128 v[13:16], v33 offset:16
	ds_load_b128 v[46:49], v34 offset:4880
	ds_load_b128 v[50:53], v34 offset:5264
	s_waitcnt lgkmcnt(1)
	;;#ASMSTART
	v_dot2_f32_f16 v44, v13, v46, v44
	;;#ASMEND
	;;#ASMSTART
	v_dot2_f32_f16 v44, v14, v47, v44
	;;#ASMEND
	;;#ASMSTART
	v_dot2_f32_f16 v44, v15, v48, v44
	;;#ASMEND
	;;#ASMSTART
	v_dot2_f32_f16 v44, v16, v49, v44
	;;#ASMEND
	s_waitcnt lgkmcnt(0)
	;;#ASMSTART
	v_dot2_f32_f16 v45, v13, v50, v45
	;;#ASMEND
	;;#ASMSTART
	v_dot2_f32_f16 v45, v14, v51, v45
	;;#ASMEND
	;;#ASMSTART
	v_dot2_f32_f16 v45, v15, v52, v45
	;;#ASMEND
	;;#ASMSTART
	v_dot2_f32_f16 v45, v16, v53, v45
	;;#ASMEND
	ds_load_b128 v[13:16], v33 offset:32
	;; [unrolled: 29-line block ×7, first 2 shown]
	ds_load_b128 v[46:49], v34 offset:4976
	ds_load_b128 v[50:53], v34 offset:5360
	s_waitcnt lgkmcnt(1)
	;;#ASMSTART
	v_dot2_f32_f16 v44, v13, v46, v44
	;;#ASMEND
	;;#ASMSTART
	v_dot2_f32_f16 v44, v14, v47, v44
	;;#ASMEND
	;; [unrolled: 3-line block ×4, first 2 shown]
	s_waitcnt lgkmcnt(0)
	;;#ASMSTART
	v_dot2_f32_f16 v45, v13, v50, v45
	;;#ASMEND
	;;#ASMSTART
	v_dot2_f32_f16 v45, v14, v51, v45
	;;#ASMEND
	v_mov_b32_e32 v51, v3
	;;#ASMSTART
	v_dot2_f32_f16 v45, v15, v52, v45
	;;#ASMEND
	;;#ASMSTART
	v_dot2_f32_f16 v45, v16, v53, v45
	;;#ASMEND
	flat_load_u16 v50, v[54:55]
	v_cmp_gt_i32_e32 vcc_lo, 32, v29
	v_mov_b32_e32 v52, v2
	s_waitcnt vmcnt(0) lgkmcnt(0)
	s_barrier
	buffer_gl0_inv
	v_cndmask_b32_e32 v2, v20, v29, vcc_lo
	v_cmp_gt_i32_e32 vcc_lo, 32, v28
	v_dual_max_f32 v58, v51, v51 :: v_dual_cndmask_b32 v3, v20, v28
	v_cmp_gt_i32_e32 vcc_lo, 32, v27
	s_delay_alu instid0(VALU_DEP_2) | instskip(SKIP_4) | instid1(VALU_DEP_2)
	v_dual_max_f32 v59, v52, v52 :: v_dual_lshlrev_b32 v54, 2, v3
	v_cndmask_b32_e32 v13, v20, v27, vcc_lo
	v_cmp_gt_i32_e32 vcc_lo, 32, v26
	v_cndmask_b32_e32 v14, v20, v26, vcc_lo
	v_cmp_gt_i32_e32 vcc_lo, 32, v25
	v_lshlrev_b32_e32 v56, 2, v14
	v_lshlrev_b32_e32 v55, 2, v13
	v_cndmask_b32_e32 v15, v20, v25, vcc_lo
	s_delay_alu instid0(VALU_DEP_1) | instskip(SKIP_3) | instid1(VALU_DEP_1)
	v_lshlrev_b32_e32 v57, 2, v15
	v_lshlrev_b32_e32 v53, 2, v2
	v_add_co_u32 v2, vcc_lo, s2, v11
	v_add_co_u32 v3, s2, s2, v9
	v_add_co_ci_u32_e64 v14, s2, s4, v10, s2
	s_mul_i32 s2, s19, s10
	v_add_co_ci_u32_e32 v15, vcc_lo, s4, v12, vcc_lo
	s_lshl_b64 s[2:3], s[2:3], 2
	v_add_co_u32 v2, vcc_lo, v2, v41
	s_add_u32 s4, s11, s2
	v_add_co_u32 v13, s2, v3, v41
	v_add_co_ci_u32_e32 v3, vcc_lo, 0, v15, vcc_lo
	v_add_co_ci_u32_e64 v14, s2, 0, v14, s2
	v_add_co_u32 v15, vcc_lo, s4, v11
	s_addc_u32 s3, s18, s3
	v_add_co_u32 v60, s2, s4, v9
	v_add_co_ci_u32_e32 v62, vcc_lo, s3, v12, vcc_lo
	s_delay_alu instid0(VALU_DEP_3)
	v_add_co_u32 v88, vcc_lo, v15, v41
	s_clause 0x1
	global_load_b128 v[13:16], v[13:14], off
	global_load_b128 v[46:49], v[2:3], off
	v_add_co_ci_u32_e64 v61, s2, s3, v10, s2
	v_add_co_u32 v90, s2, v60, v41
	v_add_co_ci_u32_e32 v89, vcc_lo, 0, v62, vcc_lo
	s_delay_alu instid0(VALU_DEP_3) | instskip(SKIP_1) | instid1(VALU_DEP_1)
	v_add_co_ci_u32_e64 v91, s2, 0, v61, s2
	v_cvt_f32_f16_e32 v2, v50
	v_add_f32_e32 v45, v45, v2
	s_delay_alu instid0(VALU_DEP_1) | instskip(NEXT) | instid1(VALU_DEP_1)
	v_dual_add_f32 v44, v44, v2 :: v_dual_add_f32 v3, 0x40051340, v45
	v_dual_add_f32 v2, 0x40051340, v44 :: v_dual_max_f32 v3, v58, v3
	s_delay_alu instid0(VALU_DEP_1) | instskip(SKIP_4) | instid1(VALU_DEP_1)
	v_max_f32_e32 v2, v59, v2
	ds_bpermute_b32 v50, v53, v2
	ds_bpermute_b32 v53, v53, v3
	s_waitcnt lgkmcnt(0)
	v_dual_max_f32 v50, v50, v50 :: v_dual_max_f32 v53, v53, v53
	v_max_f32_e32 v2, v2, v50
	ds_bpermute_b32 v50, v54, v2
	s_waitcnt lgkmcnt(0)
	v_dual_max_f32 v3, v3, v53 :: v_dual_max_f32 v50, v50, v50
	ds_bpermute_b32 v53, v54, v3
	v_max_f32_e32 v2, v2, v50
	ds_bpermute_b32 v50, v55, v2
	s_waitcnt lgkmcnt(1)
	v_max_f32_e32 v53, v53, v53
	s_waitcnt lgkmcnt(0)
	s_delay_alu instid0(VALU_DEP_1)
	v_dual_max_f32 v3, v3, v53 :: v_dual_max_f32 v50, v50, v50
	ds_bpermute_b32 v53, v55, v3
	v_max_f32_e32 v2, v2, v50
	ds_bpermute_b32 v50, v56, v2
	s_waitcnt lgkmcnt(1)
	v_max_f32_e32 v53, v53, v53
	s_waitcnt lgkmcnt(0)
	s_delay_alu instid0(VALU_DEP_1)
	v_dual_max_f32 v3, v3, v53 :: v_dual_max_f32 v50, v50, v50
	ds_bpermute_b32 v53, v56, v3
	v_max_f32_e32 v2, v2, v50
	ds_bpermute_b32 v50, v57, v2
	s_waitcnt lgkmcnt(1)
	v_max_f32_e32 v53, v53, v53
	s_waitcnt lgkmcnt(0)
	s_delay_alu instid0(VALU_DEP_1) | instskip(SKIP_2) | instid1(VALU_DEP_1)
	v_dual_max_f32 v3, v3, v53 :: v_dual_max_f32 v50, v50, v50
	ds_bpermute_b32 v53, v57, v3
	v_max_f32_e32 v2, v2, v50
	v_sub_f32_e32 v50, v52, v2
	v_sub_f32_e32 v44, v44, v2
	s_delay_alu instid0(VALU_DEP_2) | instskip(NEXT) | instid1(VALU_DEP_2)
	v_mul_f32_e32 v52, 0x3fb8aa3b, v50
	v_mul_f32_e32 v54, 0x3fb8aa3b, v44
	v_cmp_ngt_f32_e64 s2, 0xc2ce8ed0, v44
	v_cmp_ngt_f32_e64 s4, 0xc2ce8ed0, v50
	s_delay_alu instid0(VALU_DEP_4)
	v_rndne_f32_e32 v57, v52
	s_waitcnt lgkmcnt(0)
	v_max_f32_e32 v53, v53, v53
	v_fma_f32 v56, 0x3fb8aa3b, v50, -v52
	v_fma_f32 v60, 0x3fb8aa3b, v44, -v54
	v_rndne_f32_e32 v61, v54
	v_sub_f32_e32 v52, v52, v57
	v_max_f32_e32 v3, v3, v53
	v_cvt_i32_f32_e32 v57, v57
	s_delay_alu instid0(VALU_DEP_2) | instskip(SKIP_1) | instid1(VALU_DEP_2)
	v_sub_f32_e32 v45, v45, v3
	v_sub_f32_e32 v51, v51, v3
	v_mul_f32_e32 v53, 0x3fb8aa3b, v45
	s_delay_alu instid0(VALU_DEP_2) | instskip(SKIP_2) | instid1(VALU_DEP_4)
	v_mul_f32_e32 v55, 0x3fb8aa3b, v51
	v_cmp_ngt_f32_e32 vcc_lo, 0xc2ce8ed0, v45
	v_cmp_ngt_f32_e64 s3, 0xc2ce8ed0, v51
	v_fma_f32 v58, 0x3fb8aa3b, v45, -v53
	v_rndne_f32_e32 v59, v53
	v_fma_f32 v62, 0x3fb8aa3b, v51, -v55
	v_rndne_f32_e32 v63, v55
	v_fmac_f32_e32 v56, 0x32a5705f, v50
	s_delay_alu instid0(VALU_DEP_4) | instskip(NEXT) | instid1(VALU_DEP_4)
	v_dual_fmac_f32 v58, 0x32a5705f, v45 :: v_dual_sub_f32 v53, v53, v59
	v_fmac_f32_e32 v62, 0x32a5705f, v51
	s_delay_alu instid0(VALU_DEP_4) | instskip(SKIP_1) | instid1(VALU_DEP_4)
	v_dual_sub_f32 v55, v55, v63 :: v_dual_fmac_f32 v60, 0x32a5705f, v44
	v_sub_f32_e32 v54, v54, v61
	v_dual_add_f32 v52, v52, v56 :: v_dual_add_f32 v53, v53, v58
	s_delay_alu instid0(VALU_DEP_3) | instskip(SKIP_1) | instid1(VALU_DEP_4)
	v_add_f32_e32 v55, v55, v62
	v_cvt_i32_f32_e32 v59, v59
	v_add_f32_e32 v54, v54, v60
	s_delay_alu instid0(VALU_DEP_4)
	v_exp_f32_e32 v52, v52
	v_exp_f32_e32 v53, v53
	;; [unrolled: 1-line block ×3, first 2 shown]
	v_cvt_i32_f32_e32 v61, v61
	v_exp_f32_e32 v54, v54
	v_cvt_i32_f32_e32 v63, v63
	v_ldexp_f32 v52, v52, v57
	s_delay_alu instid0(TRANS32_DEP_3)
	v_ldexp_f32 v53, v53, v59
	s_waitcnt_depctr 0xfff
	v_ldexp_f32 v55, v55, v63
	v_ldexp_f32 v54, v54, v61
	v_cndmask_b32_e64 v52, 0, v52, s4
	v_cmp_nlt_f32_e64 s4, 0x42b17218, v50
	v_cndmask_b32_e32 v50, 0, v53, vcc_lo
	v_cmp_nlt_f32_e32 vcc_lo, 0x42b17218, v44
	v_cndmask_b32_e64 v53, 0, v54, s2
	v_cndmask_b32_e64 v44, 0, v55, s3
	v_cmp_nlt_f32_e64 s3, 0x42b17218, v45
	v_cmp_nlt_f32_e64 s2, 0x42b17218, v51
	v_cndmask_b32_e64 v94, 0x7f800000, v52, s4
	v_cndmask_b32_e32 v93, 0x7f800000, v53, vcc_lo
	s_delay_alu instid0(VALU_DEP_4) | instskip(NEXT) | instid1(VALU_DEP_4)
	v_cndmask_b32_e64 v92, 0x7f800000, v50, s3
	v_cndmask_b32_e64 v95, 0x7f800000, v44, s2
	s_delay_alu instid0(VALU_DEP_4) | instskip(NEXT) | instid1(VALU_DEP_4)
	v_cvt_f16_f32_e32 v84, v94
	v_cvt_f16_f32_e32 v45, v93
	v_fma_f32 v30, v30, v94, v93
	v_cvt_f16_f32_e32 v44, v92
	v_cvt_f16_f32_e32 v85, v95
	s_delay_alu instid0(VALU_DEP_2)
	v_pack_b32_f16 v44, v45, v44
	ds_store_b32 v37, v44
	s_waitcnt vmcnt(1)
	ds_store_b128 v36, v[13:16]
	s_waitcnt vmcnt(0)
	ds_store_b128 v38, v[46:49]
	s_waitcnt lgkmcnt(0)
	s_barrier
	buffer_gl0_inv
	ds_load_2addr_b64 v[13:16], v39 offset1:32
	ds_load_b128 v[44:47], v35
	ds_load_b128 v[48:51], v35 offset:16
	ds_load_b128 v[52:55], v35 offset:32
	;; [unrolled: 1-line block ×3, first 2 shown]
	ds_load_2addr_b64 v[60:63], v39 offset0:64 offset1:96
	ds_load_2addr_b64 v[64:67], v39 offset0:128 offset1:160
	ds_load_2addr_b64 v[68:71], v39 offset0:192 offset1:224
	ds_load_2addr_b64 v[72:75], v42 offset1:32
	ds_load_2addr_b64 v[76:79], v42 offset0:64 offset1:96
	ds_load_2addr_b64 v[80:83], v42 offset0:128 offset1:160
	v_pk_mul_f16 v19, v85, v19 op_sel_hi:[0,1]
	s_waitcnt lgkmcnt(9)
	v_pk_mul_f16 v86, v13, v44 op_sel_hi:[1,0]
	v_pk_mul_f16 v13, v13, v44 op_sel:[0,1]
	s_delay_alu instid0(VALU_DEP_2) | instskip(SKIP_1) | instid1(VALU_DEP_3)
	v_pk_fma_f16 v22, v84, v22, v86 op_sel_hi:[0,1,1]
	v_pk_mul_f16 v86, v14, v44 op_sel_hi:[1,0]
	v_pk_fma_f16 v13, v85, v21, v13 op_sel_hi:[0,1,1]
	v_pk_fma_f16 v14, v14, v44, v19 op_sel:[0,1,0]
	s_delay_alu instid0(VALU_DEP_4) | instskip(NEXT) | instid1(VALU_DEP_4)
	v_pk_fma_f16 v22, v15, v45, v22 op_sel_hi:[1,0,1]
	v_pk_fma_f16 v21, v84, v23, v86 op_sel_hi:[0,1,1]
	ds_load_2addr_b64 v[84:87], v42 offset0:192 offset1:224
	s_waitcnt lgkmcnt(0)
	s_barrier
	buffer_gl0_inv
	v_pk_fma_f16 v19, v16, v45, v14 op_sel:[0,1,0]
	v_pk_fma_f16 v23, v15, v45, v13 op_sel:[0,1,0]
	v_pk_fma_f16 v21, v16, v45, v21 op_sel_hi:[1,0,1]
	s_clause 0x1
	global_load_b128 v[13:16], v[90:91], off
	global_load_b128 v[88:91], v[88:89], off
	v_pk_fma_f16 v22, v60, v46, v22 op_sel_hi:[1,0,1]
	v_pk_fma_f16 v19, v61, v46, v19 op_sel:[0,1,0]
	v_pk_fma_f16 v23, v60, v46, v23 op_sel:[0,1,0]
	v_pk_fma_f16 v21, v61, v46, v21 op_sel_hi:[1,0,1]
	s_waitcnt vmcnt(1)
	ds_store_b128 v36, v[13:16]
	s_waitcnt vmcnt(0)
	ds_store_b128 v38, v[88:91]
	v_pk_fma_f16 v19, v63, v47, v19 op_sel:[0,1,0]
	v_pk_fma_f16 v22, v62, v47, v22 op_sel_hi:[1,0,1]
	v_pk_fma_f16 v23, v62, v47, v23 op_sel:[0,1,0]
	v_pk_fma_f16 v21, v63, v47, v21 op_sel_hi:[1,0,1]
	s_waitcnt lgkmcnt(0)
	v_pk_fma_f16 v19, v65, v48, v19 op_sel:[0,1,0]
	v_pk_fma_f16 v22, v64, v48, v22 op_sel_hi:[1,0,1]
	v_pk_fma_f16 v23, v64, v48, v23 op_sel:[0,1,0]
	v_pk_fma_f16 v21, v65, v48, v21 op_sel_hi:[1,0,1]
	s_barrier
	v_pk_fma_f16 v19, v67, v49, v19 op_sel:[0,1,0]
	v_pk_fma_f16 v22, v66, v49, v22 op_sel_hi:[1,0,1]
	v_pk_fma_f16 v23, v66, v49, v23 op_sel:[0,1,0]
	v_pk_fma_f16 v21, v67, v49, v21 op_sel_hi:[1,0,1]
	buffer_gl0_inv
	v_pk_fma_f16 v19, v69, v50, v19 op_sel:[0,1,0]
	v_pk_fma_f16 v22, v68, v50, v22 op_sel_hi:[1,0,1]
	v_pk_fma_f16 v23, v68, v50, v23 op_sel:[0,1,0]
	v_pk_fma_f16 v21, v69, v50, v21 op_sel_hi:[1,0,1]
	s_delay_alu instid0(VALU_DEP_4) | instskip(NEXT) | instid1(VALU_DEP_4)
	v_pk_fma_f16 v19, v71, v51, v19 op_sel:[0,1,0]
	v_pk_fma_f16 v22, v70, v51, v22 op_sel_hi:[1,0,1]
	s_delay_alu instid0(VALU_DEP_4) | instskip(NEXT) | instid1(VALU_DEP_4)
	;; [unrolled: 3-line block ×18, first 2 shown]
	v_pk_fma_f16 v23, v86, v59, v23 op_sel:[0,1,0]
	v_pk_fma_f16 v21, v87, v59, v21 op_sel_hi:[1,0,1]
	ds_load_2addr_b64 v[13:16], v39 offset1:32
	ds_load_b128 v[43:46], v35 offset:64
	ds_load_b128 v[47:50], v35 offset:80
	;; [unrolled: 1-line block ×4, first 2 shown]
	ds_load_2addr_b64 v[59:62], v39 offset0:64 offset1:96
	ds_load_2addr_b64 v[63:66], v39 offset0:128 offset1:160
	;; [unrolled: 1-line block ×3, first 2 shown]
	ds_load_2addr_b64 v[71:74], v42 offset1:32
	ds_load_2addr_b64 v[75:78], v42 offset0:64 offset1:96
	ds_load_2addr_b64 v[79:82], v42 offset0:128 offset1:160
	;; [unrolled: 1-line block ×3, first 2 shown]
	s_waitcnt lgkmcnt(0)
	s_barrier
	buffer_gl0_inv
	s_load_b32 s2, s[8:9], 0x4
	v_pk_fma_f16 v22, v13, v43, v22 op_sel_hi:[1,0,1]
	v_pk_fma_f16 v13, v13, v43, v23 op_sel:[0,1,0]
	v_pk_fma_f16 v21, v14, v43, v21 op_sel_hi:[1,0,1]
	v_pk_fma_f16 v14, v14, v43, v19 op_sel:[0,1,0]
	v_mov_b32_e32 v43, v92
	v_pk_fma_f16 v19, v15, v44, v22 op_sel_hi:[1,0,1]
	v_pk_fma_f16 v13, v15, v44, v13 op_sel:[0,1,0]
	v_pk_fma_f16 v15, v16, v44, v21 op_sel_hi:[1,0,1]
	v_pk_fma_f16 v14, v16, v44, v14 op_sel:[0,1,0]
	v_fmac_f32_e32 v43, v96, v95
	v_pk_fma_f16 v16, v59, v45, v19 op_sel_hi:[1,0,1]
	v_pk_fma_f16 v13, v59, v45, v13 op_sel:[0,1,0]
	v_pk_fma_f16 v15, v60, v45, v15 op_sel_hi:[1,0,1]
	v_pk_fma_f16 v14, v60, v45, v14 op_sel:[0,1,0]
	s_waitcnt lgkmcnt(0)
	s_lshl_b32 s2, s2, 5
	v_pk_fma_f16 v16, v61, v46, v16 op_sel_hi:[1,0,1]
	v_pk_fma_f16 v13, v61, v46, v13 op_sel:[0,1,0]
	v_pk_fma_f16 v15, v62, v46, v15 op_sel_hi:[1,0,1]
	v_pk_fma_f16 v14, v62, v46, v14 op_sel:[0,1,0]
	s_add_i32 s5, s2, s5
	v_pk_fma_f16 v16, v63, v47, v16 op_sel_hi:[1,0,1]
	v_pk_fma_f16 v13, v63, v47, v13 op_sel:[0,1,0]
	v_pk_fma_f16 v15, v64, v47, v15 op_sel_hi:[1,0,1]
	v_pk_fma_f16 v14, v64, v47, v14 op_sel:[0,1,0]
	s_cmp_ge_i32 s5, s34
	v_pk_fma_f16 v16, v65, v48, v16 op_sel_hi:[1,0,1]
	v_pk_fma_f16 v13, v65, v48, v13 op_sel:[0,1,0]
	v_pk_fma_f16 v15, v66, v48, v15 op_sel_hi:[1,0,1]
	v_pk_fma_f16 v14, v66, v48, v14 op_sel:[0,1,0]
	s_delay_alu instid0(VALU_DEP_4) | instskip(NEXT) | instid1(VALU_DEP_4)
	v_pk_fma_f16 v16, v67, v49, v16 op_sel_hi:[1,0,1]
	v_pk_fma_f16 v13, v67, v49, v13 op_sel:[0,1,0]
	s_delay_alu instid0(VALU_DEP_4) | instskip(NEXT) | instid1(VALU_DEP_4)
	;; [unrolled: 3-line block ×20, first 2 shown]
	v_pk_fma_f16 v23, v86, v58, v15 op_sel_hi:[1,0,1]
	v_pk_fma_f16 v19, v86, v58, v14 op_sel:[0,1,0]
	s_cbranch_scc0 .LBB16_13
; %bb.14:
	v_mov_b32_e32 v8, v20
.LBB16_15:
	v_cmp_lt_i32_e32 vcc_lo, v29, v24
	s_cmp_lg_u64 s[24:25], 0
	s_cselect_b32 s2, -1, 0
	s_cmp_eq_u32 s14, 0
	v_cndmask_b32_e32 v4, v8, v29, vcc_lo
	v_cmp_lt_i32_e32 vcc_lo, v28, v24
	s_cselect_b32 s3, -1, 0
	s_delay_alu instid0(SALU_CYCLE_1) | instskip(NEXT) | instid1(VALU_DEP_2)
	s_and_b32 s2, s3, s2
	v_lshlrev_b32_e32 v4, 2, v4
	v_cndmask_b32_e32 v6, v8, v28, vcc_lo
	v_cmp_lt_i32_e32 vcc_lo, v27, v24
	ds_bpermute_b32 v5, v4, v30
	v_cndmask_b32_e32 v9, v8, v27, vcc_lo
	v_cmp_lt_i32_e32 vcc_lo, v26, v24
	s_delay_alu instid0(VALU_DEP_2)
	v_lshlrev_b32_e32 v9, 2, v9
	s_waitcnt lgkmcnt(0)
	v_dual_add_f32 v5, v30, v5 :: v_dual_lshlrev_b32 v6, 2, v6
	ds_bpermute_b32 v4, v4, v43
	ds_bpermute_b32 v7, v6, v5
	s_waitcnt lgkmcnt(0)
	v_dual_add_f32 v4, v43, v4 :: v_dual_add_f32 v5, v5, v7
	ds_bpermute_b32 v6, v6, v4
	s_waitcnt lgkmcnt(0)
	v_add_f32_e32 v4, v4, v6
	ds_bpermute_b32 v6, v9, v5
	ds_bpermute_b32 v7, v9, v4
	v_cndmask_b32_e32 v9, v8, v26, vcc_lo
	v_cmp_lt_i32_e32 vcc_lo, v25, v24
	v_cndmask_b32_e32 v8, v8, v25, vcc_lo
	s_and_b32 vcc_lo, exec_lo, s2
	s_mov_b32 s2, 0
	s_delay_alu instid0(VALU_DEP_1)
	v_lshlrev_b32_e32 v8, 2, v8
	v_lshlrev_b32_e32 v9, 2, v9
	s_waitcnt lgkmcnt(0)
	v_dual_add_f32 v5, v5, v6 :: v_dual_add_f32 v4, v4, v7
	ds_bpermute_b32 v6, v9, v5
	ds_bpermute_b32 v7, v9, v4
	s_waitcnt lgkmcnt(0)
	v_dual_add_f32 v5, v5, v6 :: v_dual_add_f32 v6, v4, v7
	ds_bpermute_b32 v4, v8, v5
	ds_bpermute_b32 v7, v8, v6
	v_add_nc_u32_e32 v8, s15, v18
	s_waitcnt lgkmcnt(0)
	v_dual_add_f32 v4, v5, v4 :: v_dual_add_f32 v5, v6, v7
	s_cbranch_vccnz .LBB16_17
; %bb.16:
	s_delay_alu instid0(VALU_DEP_1) | instskip(NEXT) | instid1(VALU_DEP_2)
	v_mov_b32_e32 v7, v5
	v_dual_mov_b32 v6, v4 :: v_dual_add_nc_u32 v9, s15, v18
	s_and_not1_b32 vcc_lo, exec_lo, s2
	s_cbranch_vccz .LBB16_18
	s_branch .LBB16_19
.LBB16_17:
                                        ; implicit-def: $vgpr9
                                        ; implicit-def: $vgpr6_vgpr7
.LBB16_18:
	s_delay_alu instid0(VALU_DEP_2) | instskip(SKIP_1) | instid1(VALU_DEP_2)
	v_ashrrev_i32_e32 v9, 31, v8
	v_max_f32_e32 v11, v3, v3
	v_lshlrev_b64 v[6:7], 2, v[8:9]
	s_delay_alu instid0(VALU_DEP_1) | instskip(NEXT) | instid1(VALU_DEP_2)
	v_add_co_u32 v6, vcc_lo, s24, v6
	v_add_co_ci_u32_e32 v7, vcc_lo, s25, v7, vcc_lo
	global_load_b64 v[6:7], v[6:7], off
	s_waitcnt vmcnt(0)
	v_dual_max_f32 v9, v2, v2 :: v_dual_max_f32 v12, v7, v7
	s_delay_alu instid0(VALU_DEP_1) | instskip(NEXT) | instid1(VALU_DEP_1)
	v_dual_max_f32 v10, v6, v6 :: v_dual_max_f32 v11, v11, v12
	v_dual_max_f32 v10, v9, v10 :: v_dual_sub_f32 v3, v3, v11
	s_delay_alu instid0(VALU_DEP_1) | instskip(SKIP_1) | instid1(VALU_DEP_3)
	v_sub_f32_e32 v2, v2, v10
	v_dual_sub_f32 v6, v6, v10 :: v_dual_sub_f32 v7, v7, v11
	v_mul_f32_e32 v13, 0x3fb8aa3b, v3
	s_delay_alu instid0(VALU_DEP_3) | instskip(NEXT) | instid1(VALU_DEP_3)
	v_mul_f32_e32 v9, 0x3fb8aa3b, v2
	v_mul_f32_e32 v12, 0x3fb8aa3b, v6
	s_delay_alu instid0(VALU_DEP_4)
	v_mul_f32_e32 v14, 0x3fb8aa3b, v7
	v_cmp_ngt_f32_e32 vcc_lo, 0xc2ce8ed0, v2
	v_fma_f32 v24, 0x3fb8aa3b, v3, -v13
	v_fma_f32 v15, 0x3fb8aa3b, v2, -v9
	v_rndne_f32_e32 v16, v9
	v_fma_f32 v18, 0x3fb8aa3b, v6, -v12
	v_rndne_f32_e32 v20, v12
	v_rndne_f32_e32 v25, v13
	v_fmac_f32_e32 v15, 0x32a5705f, v2
	s_delay_alu instid0(VALU_DEP_4) | instskip(NEXT) | instid1(VALU_DEP_4)
	v_dual_sub_f32 v9, v9, v16 :: v_dual_fmac_f32 v18, 0x32a5705f, v6
	v_sub_f32_e32 v12, v12, v20
	v_fma_f32 v26, 0x3fb8aa3b, v7, -v14
	v_dual_fmac_f32 v24, 0x32a5705f, v3 :: v_dual_sub_f32 v13, v13, v25
	s_delay_alu instid0(VALU_DEP_3) | instskip(SKIP_1) | instid1(VALU_DEP_3)
	v_dual_add_f32 v9, v9, v15 :: v_dual_add_f32 v12, v12, v18
	v_rndne_f32_e32 v27, v14
	v_dual_fmac_f32 v26, 0x32a5705f, v7 :: v_dual_add_f32 v13, v13, v24
	s_delay_alu instid0(VALU_DEP_3) | instskip(NEXT) | instid1(VALU_DEP_3)
	v_exp_f32_e32 v15, v9
	v_exp_f32_e32 v12, v12
	v_cvt_i32_f32_e32 v16, v16
	v_dual_sub_f32 v14, v14, v27 :: v_dual_mov_b32 v9, v8
	v_exp_f32_e32 v13, v13
	v_cvt_i32_f32_e32 v18, v20
	v_cvt_i32_f32_e32 v20, v25
	v_cvt_i32_f32_e32 v24, v27
	s_delay_alu instid0(TRANS32_DEP_3)
	v_ldexp_f32 v8, v15, v16
	s_delay_alu instid0(TRANS32_DEP_2) | instid1(VALU_DEP_4)
	v_ldexp_f32 v12, v12, v18
	s_delay_alu instid0(VALU_DEP_2) | instskip(SKIP_1) | instid1(TRANS32_DEP_1)
	v_cndmask_b32_e32 v8, 0, v8, vcc_lo
	v_cmp_ngt_f32_e32 vcc_lo, 0xc2ce8ed0, v6
	v_ldexp_f32 v13, v13, v20
	s_delay_alu instid0(VALU_DEP_4) | instskip(SKIP_1) | instid1(VALU_DEP_3)
	v_cndmask_b32_e32 v12, 0, v12, vcc_lo
	v_cmp_ngt_f32_e32 vcc_lo, 0xc2ce8ed0, v3
	v_dual_add_f32 v14, v14, v26 :: v_dual_cndmask_b32 v13, 0, v13
	s_delay_alu instid0(VALU_DEP_1) | instskip(SKIP_3) | instid1(VALU_DEP_1)
	v_exp_f32_e32 v14, v14
	v_cmp_ngt_f32_e32 vcc_lo, 0xc2ce8ed0, v7
	s_waitcnt_depctr 0xfff
	v_ldexp_f32 v14, v14, v24
	v_cndmask_b32_e32 v14, 0, v14, vcc_lo
	v_cmp_nlt_f32_e32 vcc_lo, 0x42b17218, v2
	v_cndmask_b32_e32 v8, 0x7f800000, v8, vcc_lo
	v_cmp_nlt_f32_e32 vcc_lo, 0x42b17218, v6
	;; [unrolled: 2-line block ×3, first 2 shown]
	v_dual_mov_b32 v2, v10 :: v_dual_mov_b32 v3, v11
	s_delay_alu instid0(VALU_DEP_3) | instskip(SKIP_3) | instid1(VALU_DEP_4)
	v_fmac_f32_e32 v6, v4, v8
	v_cndmask_b32_e32 v12, 0x7f800000, v13, vcc_lo
	v_cmp_nlt_f32_e32 vcc_lo, 0x42b17218, v7
	v_cvt_f16_f32_e32 v13, v8
	v_mov_b32_e32 v4, v6
	s_delay_alu instid0(VALU_DEP_4) | instskip(SKIP_1) | instid1(VALU_DEP_4)
	v_cvt_f16_f32_e32 v10, v12
	v_cndmask_b32_e32 v7, 0x7f800000, v14, vcc_lo
	v_pk_mul_f16 v22, v13, v22 op_sel_hi:[0,1]
	v_pk_mul_f16 v23, v13, v23 op_sel_hi:[0,1]
	s_delay_alu instid0(VALU_DEP_4) | instskip(NEXT) | instid1(VALU_DEP_4)
	v_pk_mul_f16 v21, v10, v21 op_sel_hi:[0,1]
	v_fmac_f32_e32 v7, v5, v12
	v_pk_mul_f16 v19, v10, v19 op_sel_hi:[0,1]
	s_delay_alu instid0(VALU_DEP_2)
	v_mov_b32_e32 v5, v7
.LBB16_19:
	s_load_b32 s1, s[0:1], 0xd4
	v_mov_b32_e32 v10, 1.0
	s_waitcnt lgkmcnt(0)
	s_cmp_lg_u32 s1, 1
	s_cselect_b32 s3, -1, 0
	s_cmp_eq_u32 s1, 1
	s_cselect_b32 s2, -1, 0
	s_and_b32 vcc_lo, exec_lo, s3
	s_cbranch_vccnz .LBB16_21
; %bb.20:
	v_div_scale_f32 v8, null, v4, v4, 1.0
	s_delay_alu instid0(VALU_DEP_1) | instskip(SKIP_2) | instid1(VALU_DEP_1)
	v_rcp_f32_e32 v10, v8
	s_waitcnt_depctr 0xfff
	v_fma_f32 v11, -v8, v10, 1.0
	v_fmac_f32_e32 v10, v11, v10
	v_div_scale_f32 v11, vcc_lo, 1.0, v4, 1.0
	s_delay_alu instid0(VALU_DEP_1) | instskip(NEXT) | instid1(VALU_DEP_1)
	v_mul_f32_e32 v12, v11, v10
	v_fma_f32 v13, -v8, v12, v11
	s_delay_alu instid0(VALU_DEP_1) | instskip(NEXT) | instid1(VALU_DEP_1)
	v_fmac_f32_e32 v12, v13, v10
	v_fma_f32 v8, -v8, v12, v11
	s_delay_alu instid0(VALU_DEP_1) | instskip(NEXT) | instid1(VALU_DEP_1)
	v_div_fmas_f32 v8, v8, v10, v12
	v_div_fixup_f32 v10, v8, v4, 1.0
.LBB16_21:
	v_mad_u64_u32 v[11:12], null, s12, s6, v[1:2]
	v_lshrrev_b32_e32 v4, 16, v22
	v_cmp_eq_u32_e32 vcc_lo, 0, v0
	s_delay_alu instid0(VALU_DEP_2) | instskip(NEXT) | instid1(VALU_DEP_4)
	v_cvt_f32_f16_e32 v4, v4
	v_mad_u64_u32 v[12:13], null, v11, s7, v[9:10]
	v_mov_b32_e32 v1, 0
	v_cvt_f32_f16_e32 v11, v22
	s_delay_alu instid0(VALU_DEP_1) | instskip(NEXT) | instid1(VALU_DEP_4)
	v_mul_f32_e32 v11, v10, v11
	v_mad_u64_u32 v[8:9], null, s1, v12, s[14:15]
	v_cvt_f32_f16_e32 v12, v23
	v_lshrrev_b32_e32 v9, 16, v23
	s_delay_alu instid0(VALU_DEP_2) | instskip(SKIP_2) | instid1(VALU_DEP_4)
	v_mul_f32_e32 v13, v10, v12
	v_mul_f32_e32 v12, v10, v4
	v_lshl_add_u32 v0, v8, 7, v17
	v_cvt_f32_f16_e32 v9, v9
	s_delay_alu instid0(VALU_DEP_2) | instskip(NEXT) | instid1(VALU_DEP_2)
	v_lshlrev_b64 v[0:1], 2, v[0:1]
	v_mul_f32_e32 v14, v10, v9
	s_delay_alu instid0(VALU_DEP_2) | instskip(NEXT) | instid1(VALU_DEP_1)
	v_add_co_u32 v0, s0, s28, v0
	v_add_co_ci_u32_e64 v1, s0, s29, v1, s0
	s_and_b32 s0, vcc_lo, s3
	global_store_b128 v[0:1], v[11:14], off
	s_and_saveexec_b32 s3, s0
	s_cbranch_execz .LBB16_23
; %bb.22:
	v_ashrrev_i32_e32 v9, 31, v8
	v_mov_b32_e32 v10, v6
	s_delay_alu instid0(VALU_DEP_2) | instskip(SKIP_1) | instid1(VALU_DEP_2)
	v_lshlrev_b64 v[0:1], 3, v[8:9]
	v_mov_b32_e32 v9, v2
	v_add_co_u32 v0, vcc_lo, s30, v0
	s_delay_alu instid0(VALU_DEP_3)
	v_add_co_ci_u32_e32 v1, vcc_lo, s31, v1, vcc_lo
	global_store_b64 v[0:1], v[9:10], off
.LBB16_23:
	s_or_b32 exec_lo, exec_lo, s3
	v_mov_b32_e32 v1, 1.0
	s_and_not1_b32 vcc_lo, exec_lo, s2
	s_cbranch_vccnz .LBB16_25
; %bb.24:
	v_div_scale_f32 v0, null, v5, v5, 1.0
	s_delay_alu instid0(VALU_DEP_1) | instskip(SKIP_2) | instid1(VALU_DEP_1)
	v_rcp_f32_e32 v1, v0
	s_waitcnt_depctr 0xfff
	v_fma_f32 v2, -v0, v1, 1.0
	v_fmac_f32_e32 v1, v2, v1
	v_div_scale_f32 v2, vcc_lo, 1.0, v5, 1.0
	s_delay_alu instid0(VALU_DEP_1) | instskip(NEXT) | instid1(VALU_DEP_1)
	v_mul_f32_e32 v4, v2, v1
	v_fma_f32 v6, -v0, v4, v2
	s_delay_alu instid0(VALU_DEP_1) | instskip(NEXT) | instid1(VALU_DEP_1)
	v_fmac_f32_e32 v4, v6, v1
	v_fma_f32 v0, -v0, v4, v2
	s_delay_alu instid0(VALU_DEP_1) | instskip(NEXT) | instid1(VALU_DEP_1)
	v_div_fmas_f32 v0, v0, v1, v4
	v_div_fixup_f32 v1, v0, v5, 1.0
.LBB16_25:
	v_dual_mov_b32 v5, 0 :: v_dual_add_nc_u32 v0, s1, v8
	v_lshrrev_b32_e32 v2, 16, v21
	v_lshrrev_b32_e32 v6, 16, v19
	v_cvt_f32_f16_e32 v8, v21
	s_delay_alu instid0(VALU_DEP_4)
	v_lshl_add_u32 v4, v0, 7, v17
	v_cvt_f32_f16_e32 v9, v19
	v_cvt_f32_f16_e32 v2, v2
	;; [unrolled: 1-line block ×3, first 2 shown]
	v_mul_f32_e32 v8, v1, v8
	v_lshlrev_b64 v[4:5], 2, v[4:5]
	v_mul_f32_e32 v10, v1, v9
	v_mul_f32_e32 v9, v1, v2
	;; [unrolled: 1-line block ×3, first 2 shown]
	s_delay_alu instid0(VALU_DEP_4)
	v_add_co_u32 v1, vcc_lo, s28, v4
	v_add_co_ci_u32_e32 v2, vcc_lo, s29, v5, vcc_lo
	global_store_b128 v[1:2], v[8:11], off
	s_and_saveexec_b32 s1, s0
	s_cbranch_execz .LBB16_27
; %bb.26:
	v_ashrrev_i32_e32 v1, 31, v0
	v_mov_b32_e32 v6, v3
	s_delay_alu instid0(VALU_DEP_2) | instskip(NEXT) | instid1(VALU_DEP_1)
	v_lshlrev_b64 v[0:1], 3, v[0:1]
	v_add_co_u32 v0, vcc_lo, s30, v0
	s_delay_alu instid0(VALU_DEP_2)
	v_add_co_ci_u32_e32 v1, vcc_lo, s31, v1, vcc_lo
	global_store_b64 v[0:1], v[6:7], off
.LBB16_27:
	s_nop 0
	s_sendmsg sendmsg(MSG_DEALLOC_VGPRS)
	s_endpgm
	.section	.rodata,"a",@progbits
	.p2align	6, 0x0
	.amdhsa_kernel _ZL15flash_attn_tileILi192ELi128ELi1ELi8ELb0EEvPKcS1_S1_S1_S1_PKiPfP15HIP_vector_typeIfLj2EEffffjfiS5_IjLj3EEiiiiiiiiiiiliiliiiiil
		.amdhsa_group_segment_fixed_size 8192
		.amdhsa_private_segment_fixed_size 0
		.amdhsa_kernarg_size 464
		.amdhsa_user_sgpr_count 13
		.amdhsa_user_sgpr_dispatch_ptr 0
		.amdhsa_user_sgpr_queue_ptr 0
		.amdhsa_user_sgpr_kernarg_segment_ptr 1
		.amdhsa_user_sgpr_dispatch_id 0
		.amdhsa_user_sgpr_private_segment_size 0
		.amdhsa_wavefront_size32 1
		.amdhsa_uses_dynamic_stack 0
		.amdhsa_enable_private_segment 0
		.amdhsa_system_sgpr_workgroup_id_x 1
		.amdhsa_system_sgpr_workgroup_id_y 1
		.amdhsa_system_sgpr_workgroup_id_z 1
		.amdhsa_system_sgpr_workgroup_info 0
		.amdhsa_system_vgpr_workitem_id 1
		.amdhsa_next_free_vgpr 97
		.amdhsa_next_free_sgpr 40
		.amdhsa_reserve_vcc 1
		.amdhsa_float_round_mode_32 0
		.amdhsa_float_round_mode_16_64 0
		.amdhsa_float_denorm_mode_32 3
		.amdhsa_float_denorm_mode_16_64 3
		.amdhsa_dx10_clamp 1
		.amdhsa_ieee_mode 1
		.amdhsa_fp16_overflow 0
		.amdhsa_workgroup_processor_mode 1
		.amdhsa_memory_ordered 1
		.amdhsa_forward_progress 0
		.amdhsa_shared_vgpr_count 0
		.amdhsa_exception_fp_ieee_invalid_op 0
		.amdhsa_exception_fp_denorm_src 0
		.amdhsa_exception_fp_ieee_div_zero 0
		.amdhsa_exception_fp_ieee_overflow 0
		.amdhsa_exception_fp_ieee_underflow 0
		.amdhsa_exception_fp_ieee_inexact 0
		.amdhsa_exception_int_div_zero 0
	.end_amdhsa_kernel
	.section	.text._ZL15flash_attn_tileILi192ELi128ELi1ELi8ELb0EEvPKcS1_S1_S1_S1_PKiPfP15HIP_vector_typeIfLj2EEffffjfiS5_IjLj3EEiiiiiiiiiiiliiliiiiil,"axG",@progbits,_ZL15flash_attn_tileILi192ELi128ELi1ELi8ELb0EEvPKcS1_S1_S1_S1_PKiPfP15HIP_vector_typeIfLj2EEffffjfiS5_IjLj3EEiiiiiiiiiiiliiliiiiil,comdat
.Lfunc_end16:
	.size	_ZL15flash_attn_tileILi192ELi128ELi1ELi8ELb0EEvPKcS1_S1_S1_S1_PKiPfP15HIP_vector_typeIfLj2EEffffjfiS5_IjLj3EEiiiiiiiiiiiliiliiiiil, .Lfunc_end16-_ZL15flash_attn_tileILi192ELi128ELi1ELi8ELb0EEvPKcS1_S1_S1_S1_PKiPfP15HIP_vector_typeIfLj2EEffffjfiS5_IjLj3EEiiiiiiiiiiiliiliiiiil
                                        ; -- End function
	.section	.AMDGPU.csdata,"",@progbits
; Kernel info:
; codeLenInByte = 10932
; NumSgprs: 42
; NumVgprs: 97
; ScratchSize: 0
; MemoryBound: 0
; FloatMode: 240
; IeeeMode: 1
; LDSByteSize: 8192 bytes/workgroup (compile time only)
; SGPRBlocks: 5
; VGPRBlocks: 12
; NumSGPRsForWavesPerEU: 42
; NumVGPRsForWavesPerEU: 97
; Occupancy: 12
; WaveLimiterHint : 1
; COMPUTE_PGM_RSRC2:SCRATCH_EN: 0
; COMPUTE_PGM_RSRC2:USER_SGPR: 13
; COMPUTE_PGM_RSRC2:TRAP_HANDLER: 0
; COMPUTE_PGM_RSRC2:TGID_X_EN: 1
; COMPUTE_PGM_RSRC2:TGID_Y_EN: 1
; COMPUTE_PGM_RSRC2:TGID_Z_EN: 1
; COMPUTE_PGM_RSRC2:TIDIG_COMP_CNT: 1
	.section	.text._ZL33flash_attn_stream_k_fixup_uniformILi128ELi1ELi8EEvPfPK15HIP_vector_typeIfLj2EEiiiiiiS1_IjLj3EES5_S5_,"axG",@progbits,_ZL33flash_attn_stream_k_fixup_uniformILi128ELi1ELi8EEvPfPK15HIP_vector_typeIfLj2EEiiiiiiS1_IjLj3EES5_S5_,comdat
	.globl	_ZL33flash_attn_stream_k_fixup_uniformILi128ELi1ELi8EEvPfPK15HIP_vector_typeIfLj2EEiiiiiiS1_IjLj3EES5_S5_ ; -- Begin function _ZL33flash_attn_stream_k_fixup_uniformILi128ELi1ELi8EEvPfPK15HIP_vector_typeIfLj2EEiiiiiiS1_IjLj3EES5_S5_
	.p2align	8
	.type	_ZL33flash_attn_stream_k_fixup_uniformILi128ELi1ELi8EEvPfPK15HIP_vector_typeIfLj2EEiiiiiiS1_IjLj3EES5_S5_,@function
_ZL33flash_attn_stream_k_fixup_uniformILi128ELi1ELi8EEvPfPK15HIP_vector_typeIfLj2EEiiiiiiS1_IjLj3EES5_S5_: ; @_ZL33flash_attn_stream_k_fixup_uniformILi128ELi1ELi8EEvPfPK15HIP_vector_typeIfLj2EEiiiiiiS1_IjLj3EES5_S5_
; %bb.0:
	s_clause 0x1
	s_load_b256 s[4:11], s[0:1], 0x1c
	s_load_b128 s[16:19], s[0:1], 0x3c
	s_waitcnt lgkmcnt(0)
	s_mul_hi_u32 s2, s7, s13
	s_delay_alu instid0(SALU_CYCLE_1) | instskip(NEXT) | instid1(SALU_CYCLE_1)
	s_add_i32 s2, s13, s2
	s_lshr_b32 s7, s2, s8
	s_delay_alu instid0(SALU_CYCLE_1) | instskip(SKIP_2) | instid1(SALU_CYCLE_1)
	s_mul_i32 s2, s7, s9
	s_load_b64 s[8:9], s[0:1], 0x10
	s_sub_i32 s2, s13, s2
	s_mul_hi_u32 s3, s2, s10
	s_delay_alu instid0(SALU_CYCLE_1) | instskip(NEXT) | instid1(SALU_CYCLE_1)
	s_add_i32 s3, s2, s3
	s_lshr_b32 s10, s3, s11
	s_delay_alu instid0(SALU_CYCLE_1) | instskip(NEXT) | instid1(SALU_CYCLE_1)
	s_mul_i32 s3, s10, s16
	s_sub_i32 s2, s2, s3
	s_delay_alu instid0(SALU_CYCLE_1) | instskip(NEXT) | instid1(SALU_CYCLE_1)
	s_mul_hi_u32 s3, s2, s17
	s_add_i32 s3, s2, s3
	s_delay_alu instid0(SALU_CYCLE_1) | instskip(NEXT) | instid1(SALU_CYCLE_1)
	s_lshr_b32 s3, s3, s18
	s_mul_i32 s11, s3, s19
	s_lshl_b32 s12, s3, 3
	s_sub_i32 s11, s2, s11
	s_delay_alu instid0(SALU_CYCLE_1) | instskip(SKIP_4) | instid1(SALU_CYCLE_1)
	s_add_i32 s11, s11, s14
	s_waitcnt lgkmcnt(0)
	s_cmp_lt_i32 s11, s8
	s_cselect_b32 s2, -1, 0
	s_add_i32 s12, s12, s15
	s_cmp_lt_i32 s12, s5
	s_cselect_b32 s3, -1, 0
	s_delay_alu instid0(SALU_CYCLE_1) | instskip(NEXT) | instid1(SALU_CYCLE_1)
	s_and_b32 s2, s2, s3
	s_and_not1_b32 vcc_lo, exec_lo, s2
	s_cbranch_vccnz .LBB17_6
; %bb.1:
	s_mul_i32 s7, s7, s8
	s_mul_i32 s10, s10, s5
	s_add_i32 s5, s11, s7
	s_load_b128 s[0:3], s[0:1], 0x0
	s_add_i32 s7, s12, s10
	s_mul_i32 s5, s5, s9
	s_delay_alu instid0(SALU_CYCLE_1) | instskip(SKIP_3) | instid1(VALU_DEP_1)
	s_add_i32 s7, s7, s5
	s_mul_i32 s5, s13, s6
	v_lshl_or_b32 v1, s7, 7, v0
	s_add_i32 s9, s5, s6
	v_ashrrev_i32_e32 v2, 31, v1
	s_delay_alu instid0(VALU_DEP_1) | instskip(SKIP_1) | instid1(VALU_DEP_1)
	v_lshlrev_b64 v[1:2], 2, v[1:2]
	s_waitcnt lgkmcnt(0)
	v_add_co_u32 v1, vcc_lo, s0, v1
	s_delay_alu instid0(VALU_DEP_2) | instskip(SKIP_1) | instid1(SALU_CYCLE_1)
	v_add_co_ci_u32_e32 v2, vcc_lo, s1, v2, vcc_lo
	s_add_i32 s0, s14, s9
	s_lshl_b32 s0, s0, 3
	global_load_b32 v5, v[1:2], off
	s_add_i32 s0, s0, s15
	s_delay_alu instid0(SALU_CYCLE_1) | instskip(NEXT) | instid1(SALU_CYCLE_1)
	s_add_i32 s0, s0, -8
	s_ashr_i32 s1, s0, 31
	s_delay_alu instid0(SALU_CYCLE_1) | instskip(NEXT) | instid1(SALU_CYCLE_1)
	s_lshl_b64 s[0:1], s[0:1], 3
	s_add_u32 s0, s2, s0
	s_addc_u32 s1, s3, s1
	s_add_i32 s7, s9, -2
	s_load_b32 s10, s[0:1], 0x4
	s_cmp_lt_i32 s7, s5
	s_cbranch_scc1 .LBB17_4
; %bb.2:
	s_lshl_b32 s16, s4, 5
	s_load_b32 s11, s[0:1], 0x0
	s_ashr_i32 s17, s16, 31
	s_delay_alu instid0(SALU_CYCLE_1) | instskip(NEXT) | instid1(SALU_CYCLE_1)
	s_lshl_b64 s[0:1], s[16:17], 2
	s_add_u32 s7, s2, s0
	s_addc_u32 s8, s3, s1
	s_add_i32 s13, s13, 1
	s_lshl_b32 s0, s15, 7
	s_lshl_b32 s1, s14, 10
	s_mul_i32 s6, s6, s13
	s_add_i32 s0, s0, s1
	s_lshl_b32 s1, s6, 10
	s_delay_alu instid0(SALU_CYCLE_1)
	s_add_i32 s0, s0, s1
	s_add_i32 s1, s14, s4
	v_or_b32_e32 v0, s0, v0
	s_add_i32 s1, s1, s9
	s_waitcnt lgkmcnt(0)
	v_mov_b32_e32 v6, s10
	s_lshl_b32 s0, s1, 3
	s_add_i32 s4, s9, -1
	v_dual_mov_b32 v0, s11 :: v_dual_add_nc_u32 v3, 0xfffff800, v0
	s_add_i32 s0, s15, s0
	s_delay_alu instid0(SALU_CYCLE_1)
	s_add_i32 s0, s0, -16
.LBB17_3:                               ; =>This Inner Loop Header: Depth=1
	s_delay_alu instid0(VALU_DEP_1) | instskip(SKIP_1) | instid1(SALU_CYCLE_1)
	v_ashrrev_i32_e32 v4, 31, v3
	s_ashr_i32 s1, s0, 31
	s_lshl_b64 s[10:11], s[0:1], 3
	s_delay_alu instid0(SALU_CYCLE_1) | instskip(NEXT) | instid1(VALU_DEP_1)
	s_add_u32 s10, s2, s10
	v_lshlrev_b64 v[7:8], 2, v[3:4]
	s_addc_u32 s11, s3, s11
	s_add_i32 s4, s4, -1
	s_add_i32 s0, s0, -8
	s_cmp_le_i32 s4, s5
	s_load_b64 s[10:11], s[10:11], 0x0
	v_add_co_u32 v7, vcc_lo, s7, v7
	v_add_co_ci_u32_e32 v8, vcc_lo, s8, v8, vcc_lo
	global_load_b32 v4, v[7:8], off
	v_max_f32_e32 v7, v0, v0
	s_waitcnt lgkmcnt(0)
	v_max_f32_e64 v8, s10, s10
	s_delay_alu instid0(VALU_DEP_1) | instskip(NEXT) | instid1(VALU_DEP_1)
	v_max_f32_e32 v7, v7, v8
	v_sub_f32_e32 v8, s10, v7
	s_delay_alu instid0(VALU_DEP_1) | instskip(NEXT) | instid1(VALU_DEP_1)
	v_dual_sub_f32 v0, v0, v7 :: v_dual_mul_f32 v9, 0x3fb8aa3b, v8
	v_fma_f32 v10, 0x3fb8aa3b, v8, -v9
	v_rndne_f32_e32 v11, v9
	s_delay_alu instid0(VALU_DEP_3) | instskip(NEXT) | instid1(VALU_DEP_2)
	v_mul_f32_e32 v12, 0x3fb8aa3b, v0
	v_dual_fmac_f32 v10, 0x32a5705f, v8 :: v_dual_sub_f32 v9, v9, v11
	v_cvt_i32_f32_e32 v11, v11
	s_delay_alu instid0(VALU_DEP_3) | instskip(SKIP_1) | instid1(VALU_DEP_4)
	v_fma_f32 v13, 0x3fb8aa3b, v0, -v12
	v_rndne_f32_e32 v14, v12
	v_add_f32_e32 v9, v9, v10
	v_cmp_ngt_f32_e32 vcc_lo, 0xc2ce8ed0, v8
	s_delay_alu instid0(VALU_DEP_3) | instskip(NEXT) | instid1(VALU_DEP_3)
	v_sub_f32_e32 v10, v12, v14
	v_exp_f32_e32 v9, v9
	s_waitcnt_depctr 0xfff
	v_ldexp_f32 v9, v9, v11
	v_cvt_i32_f32_e32 v11, v14
	s_delay_alu instid0(VALU_DEP_2) | instskip(SKIP_1) | instid1(VALU_DEP_2)
	v_cndmask_b32_e32 v9, 0, v9, vcc_lo
	v_cmp_nlt_f32_e32 vcc_lo, 0x42b17218, v8
	v_cndmask_b32_e32 v9, 0x7f800000, v9, vcc_lo
	v_cmp_ngt_f32_e32 vcc_lo, 0xc2ce8ed0, v0
	v_fmac_f32_e32 v13, 0x32a5705f, v0
	s_delay_alu instid0(VALU_DEP_1) | instskip(NEXT) | instid1(VALU_DEP_1)
	v_add_f32_e32 v10, v10, v13
	v_exp_f32_e32 v10, v10
	s_waitcnt_depctr 0xfff
	v_ldexp_f32 v10, v10, v11
	s_delay_alu instid0(VALU_DEP_1)
	v_dual_mov_b32 v11, v6 :: v_dual_cndmask_b32 v10, 0, v10
	v_cmp_le_f32_e32 vcc_lo, 0xc1a00000, v8
	s_waitcnt vmcnt(1)
	v_dual_cndmask_b32 v8, 0, v9 :: v_dual_mov_b32 v9, v5
	v_cmp_nlt_f32_e32 vcc_lo, 0x42b17218, v0
	v_cndmask_b32_e32 v5, 0x7f800000, v10, vcc_lo
	s_delay_alu instid0(VALU_DEP_3) | instskip(SKIP_2) | instid1(VALU_DEP_3)
	v_mul_f32_e32 v10, s11, v8
	v_cmp_le_f32_e32 vcc_lo, 0xc1a00000, v0
	v_mov_b32_e32 v0, v7
	v_mov_b32_e32 v6, v10
	s_waitcnt vmcnt(0)
	v_dual_cndmask_b32 v12, 0, v5 :: v_dual_mul_f32 v5, v4, v8
	s_delay_alu instid0(VALU_DEP_1) | instskip(NEXT) | instid1(VALU_DEP_2)
	v_dual_fmac_f32 v6, v11, v12 :: v_dual_add_nc_u32 v3, 0xfffffc00, v3
	v_fmac_f32_e32 v5, v9, v12
	s_cbranch_scc0 .LBB17_3
	s_branch .LBB17_5
.LBB17_4:
	s_waitcnt lgkmcnt(0)
	v_mov_b32_e32 v6, s10
.LBB17_5:
	s_waitcnt vmcnt(0)
	s_delay_alu instid0(VALU_DEP_1) | instskip(NEXT) | instid1(VALU_DEP_1)
	v_div_scale_f32 v0, null, v6, v6, v5
	v_rcp_f32_e32 v3, v0
	s_waitcnt_depctr 0xfff
	v_fma_f32 v4, -v0, v3, 1.0
	s_delay_alu instid0(VALU_DEP_1) | instskip(SKIP_1) | instid1(VALU_DEP_1)
	v_fmac_f32_e32 v3, v4, v3
	v_div_scale_f32 v4, vcc_lo, v5, v6, v5
	v_mul_f32_e32 v7, v4, v3
	s_delay_alu instid0(VALU_DEP_1) | instskip(NEXT) | instid1(VALU_DEP_1)
	v_fma_f32 v8, -v0, v7, v4
	v_fmac_f32_e32 v7, v8, v3
	s_delay_alu instid0(VALU_DEP_1) | instskip(NEXT) | instid1(VALU_DEP_1)
	v_fma_f32 v0, -v0, v7, v4
	v_div_fmas_f32 v0, v0, v3, v7
	s_delay_alu instid0(VALU_DEP_1)
	v_div_fixup_f32 v0, v0, v6, v5
	global_store_b32 v[1:2], v0, off
.LBB17_6:
	s_nop 0
	s_sendmsg sendmsg(MSG_DEALLOC_VGPRS)
	s_endpgm
	.section	.rodata,"a",@progbits
	.p2align	6, 0x0
	.amdhsa_kernel _ZL33flash_attn_stream_k_fixup_uniformILi128ELi1ELi8EEvPfPK15HIP_vector_typeIfLj2EEiiiiiiS1_IjLj3EES5_S5_
		.amdhsa_group_segment_fixed_size 0
		.amdhsa_private_segment_fixed_size 0
		.amdhsa_kernarg_size 76
		.amdhsa_user_sgpr_count 13
		.amdhsa_user_sgpr_dispatch_ptr 0
		.amdhsa_user_sgpr_queue_ptr 0
		.amdhsa_user_sgpr_kernarg_segment_ptr 1
		.amdhsa_user_sgpr_dispatch_id 0
		.amdhsa_user_sgpr_private_segment_size 0
		.amdhsa_wavefront_size32 1
		.amdhsa_uses_dynamic_stack 0
		.amdhsa_enable_private_segment 0
		.amdhsa_system_sgpr_workgroup_id_x 1
		.amdhsa_system_sgpr_workgroup_id_y 1
		.amdhsa_system_sgpr_workgroup_id_z 1
		.amdhsa_system_sgpr_workgroup_info 0
		.amdhsa_system_vgpr_workitem_id 0
		.amdhsa_next_free_vgpr 15
		.amdhsa_next_free_sgpr 20
		.amdhsa_reserve_vcc 1
		.amdhsa_float_round_mode_32 0
		.amdhsa_float_round_mode_16_64 0
		.amdhsa_float_denorm_mode_32 3
		.amdhsa_float_denorm_mode_16_64 3
		.amdhsa_dx10_clamp 1
		.amdhsa_ieee_mode 1
		.amdhsa_fp16_overflow 0
		.amdhsa_workgroup_processor_mode 1
		.amdhsa_memory_ordered 1
		.amdhsa_forward_progress 0
		.amdhsa_shared_vgpr_count 0
		.amdhsa_exception_fp_ieee_invalid_op 0
		.amdhsa_exception_fp_denorm_src 0
		.amdhsa_exception_fp_ieee_div_zero 0
		.amdhsa_exception_fp_ieee_overflow 0
		.amdhsa_exception_fp_ieee_underflow 0
		.amdhsa_exception_fp_ieee_inexact 0
		.amdhsa_exception_int_div_zero 0
	.end_amdhsa_kernel
	.section	.text._ZL33flash_attn_stream_k_fixup_uniformILi128ELi1ELi8EEvPfPK15HIP_vector_typeIfLj2EEiiiiiiS1_IjLj3EES5_S5_,"axG",@progbits,_ZL33flash_attn_stream_k_fixup_uniformILi128ELi1ELi8EEvPfPK15HIP_vector_typeIfLj2EEiiiiiiS1_IjLj3EES5_S5_,comdat
.Lfunc_end17:
	.size	_ZL33flash_attn_stream_k_fixup_uniformILi128ELi1ELi8EEvPfPK15HIP_vector_typeIfLj2EEiiiiiiS1_IjLj3EES5_S5_, .Lfunc_end17-_ZL33flash_attn_stream_k_fixup_uniformILi128ELi1ELi8EEvPfPK15HIP_vector_typeIfLj2EEiiiiiiS1_IjLj3EES5_S5_
                                        ; -- End function
	.section	.AMDGPU.csdata,"",@progbits
; Kernel info:
; codeLenInByte = 968
; NumSgprs: 22
; NumVgprs: 15
; ScratchSize: 0
; MemoryBound: 0
; FloatMode: 240
; IeeeMode: 1
; LDSByteSize: 0 bytes/workgroup (compile time only)
; SGPRBlocks: 2
; VGPRBlocks: 1
; NumSGPRsForWavesPerEU: 22
; NumVGPRsForWavesPerEU: 15
; Occupancy: 16
; WaveLimiterHint : 0
; COMPUTE_PGM_RSRC2:SCRATCH_EN: 0
; COMPUTE_PGM_RSRC2:USER_SGPR: 13
; COMPUTE_PGM_RSRC2:TRAP_HANDLER: 0
; COMPUTE_PGM_RSRC2:TGID_X_EN: 1
; COMPUTE_PGM_RSRC2:TGID_Y_EN: 1
; COMPUTE_PGM_RSRC2:TGID_Z_EN: 1
; COMPUTE_PGM_RSRC2:TIDIG_COMP_CNT: 0
	.section	.text._ZL33flash_attn_stream_k_fixup_generalILi128ELi1ELi8EEvPfPK15HIP_vector_typeIfLj2EEiiiiS1_IjLj3EES5_S5_S5_,"axG",@progbits,_ZL33flash_attn_stream_k_fixup_generalILi128ELi1ELi8EEvPfPK15HIP_vector_typeIfLj2EEiiiiS1_IjLj3EES5_S5_S5_,comdat
	.globl	_ZL33flash_attn_stream_k_fixup_generalILi128ELi1ELi8EEvPfPK15HIP_vector_typeIfLj2EEiiiiS1_IjLj3EES5_S5_S5_ ; -- Begin function _ZL33flash_attn_stream_k_fixup_generalILi128ELi1ELi8EEvPfPK15HIP_vector_typeIfLj2EEiiiiS1_IjLj3EES5_S5_S5_
	.p2align	8
	.type	_ZL33flash_attn_stream_k_fixup_generalILi128ELi1ELi8EEvPfPK15HIP_vector_typeIfLj2EEiiiiS1_IjLj3EES5_S5_S5_,@function
_ZL33flash_attn_stream_k_fixup_generalILi128ELi1ELi8EEvPfPK15HIP_vector_typeIfLj2EEiiiiS1_IjLj3EES5_S5_S5_: ; @_ZL33flash_attn_stream_k_fixup_generalILi128ELi1ELi8EEvPfPK15HIP_vector_typeIfLj2EEiiiiS1_IjLj3EES5_S5_S5_
; %bb.0:
	s_clause 0x1
	s_load_b128 s[4:7], s[0:1], 0x10
	s_load_b32 s20, s[0:1], 0x50
	s_mov_b32 s2, 0
	s_waitcnt lgkmcnt(0)
	s_mul_hi_i32 s3, s7, s13
	s_mul_i32 s12, s7, s13
	s_cmp_lg_u64 s[2:3], 0
	s_cbranch_scc0 .LBB18_21
; %bb.1:
	v_cvt_f32_ubyte0_e32 v1, 0
	v_cvt_f32_u32_e32 v2, s20
	s_sub_u32 s10, 0, s20
	s_subb_u32 s11, 0, 0
	s_delay_alu instid0(VALU_DEP_1) | instskip(NEXT) | instid1(VALU_DEP_1)
	v_fmamk_f32 v1, v1, 0x4f800000, v2
	v_rcp_f32_e32 v1, v1
	s_waitcnt_depctr 0xfff
	v_mul_f32_e32 v1, 0x5f7ffffc, v1
	s_delay_alu instid0(VALU_DEP_1) | instskip(NEXT) | instid1(VALU_DEP_1)
	v_mul_f32_e32 v2, 0x2f800000, v1
	v_trunc_f32_e32 v2, v2
	s_delay_alu instid0(VALU_DEP_1) | instskip(SKIP_1) | instid1(VALU_DEP_2)
	v_fmamk_f32 v1, v2, 0xcf800000, v1
	v_cvt_u32_f32_e32 v2, v2
	v_cvt_u32_f32_e32 v1, v1
	s_delay_alu instid0(VALU_DEP_2) | instskip(NEXT) | instid1(VALU_DEP_2)
	v_readfirstlane_b32 s8, v2
	v_readfirstlane_b32 s9, v1
	s_delay_alu instid0(VALU_DEP_2) | instskip(NEXT) | instid1(VALU_DEP_1)
	s_mul_i32 s16, s10, s8
	s_mul_hi_u32 s18, s10, s9
	s_mul_i32 s17, s11, s9
	s_add_i32 s16, s18, s16
	s_mul_i32 s19, s10, s9
	s_add_i32 s16, s16, s17
	s_mul_hi_u32 s18, s9, s19
	s_mul_hi_u32 s21, s8, s19
	s_mul_i32 s17, s8, s19
	s_mul_hi_u32 s19, s9, s16
	s_mul_i32 s9, s9, s16
	s_mul_hi_u32 s22, s8, s16
	s_add_u32 s9, s18, s9
	s_addc_u32 s18, 0, s19
	s_add_u32 s9, s9, s17
	s_mul_i32 s16, s8, s16
	s_addc_u32 s9, s18, s21
	s_addc_u32 s17, s22, 0
	s_add_u32 s9, s9, s16
	s_addc_u32 s16, 0, s17
	v_add_co_u32 v1, s9, v1, s9
	s_delay_alu instid0(VALU_DEP_1) | instskip(SKIP_1) | instid1(VALU_DEP_1)
	s_cmp_lg_u32 s9, 0
	s_addc_u32 s8, s8, s16
	v_readfirstlane_b32 s9, v1
	s_mul_i32 s16, s10, s8
	s_delay_alu instid0(VALU_DEP_1)
	s_mul_hi_u32 s17, s10, s9
	s_mul_i32 s11, s11, s9
	s_add_i32 s16, s17, s16
	s_mul_i32 s10, s10, s9
	s_add_i32 s16, s16, s11
	s_mul_hi_u32 s17, s8, s10
	s_mul_i32 s18, s8, s10
	s_mul_hi_u32 s10, s9, s10
	s_mul_hi_u32 s19, s9, s16
	s_mul_i32 s9, s9, s16
	s_mul_hi_u32 s11, s8, s16
	s_add_u32 s9, s10, s9
	s_addc_u32 s10, 0, s19
	s_add_u32 s9, s9, s18
	s_mul_i32 s16, s8, s16
	s_addc_u32 s9, s10, s17
	s_addc_u32 s10, s11, 0
	s_add_u32 s9, s9, s16
	s_addc_u32 s10, 0, s10
	v_add_co_u32 v1, s9, v1, s9
	s_delay_alu instid0(VALU_DEP_1) | instskip(SKIP_2) | instid1(SALU_CYCLE_1)
	s_cmp_lg_u32 s9, 0
	s_addc_u32 s16, s8, s10
	s_ashr_i32 s8, s3, 31
	s_add_u32 s10, s12, s8
	s_addc_u32 s11, s3, s8
	v_readfirstlane_b32 s3, v1
	s_mov_b32 s9, s8
	s_delay_alu instid0(SALU_CYCLE_1) | instskip(NEXT) | instid1(SALU_CYCLE_1)
	s_xor_b64 s[10:11], s[10:11], s[8:9]
	s_mul_i32 s18, s10, s16
	s_delay_alu instid0(VALU_DEP_1)
	s_mul_hi_u32 s19, s10, s3
	s_mul_hi_u32 s17, s10, s16
	;; [unrolled: 1-line block ×3, first 2 shown]
	s_mul_i32 s3, s11, s3
	s_add_u32 s18, s19, s18
	s_addc_u32 s17, 0, s17
	s_mul_hi_u32 s21, s11, s16
	s_add_u32 s3, s18, s3
	s_mul_i32 s16, s11, s16
	s_addc_u32 s3, s17, s22
	s_addc_u32 s17, s21, 0
	s_add_u32 s3, s3, s16
	s_addc_u32 s16, 0, s17
	s_mul_i32 s18, s20, s3
	s_add_u32 s17, s3, 1
	v_sub_co_u32 v1, s10, s10, s18
	s_mul_hi_u32 s18, s20, s3
	s_addc_u32 s19, s16, 0
	s_mul_i32 s21, s20, s16
	s_delay_alu instid0(VALU_DEP_1)
	v_sub_co_u32 v2, s22, v1, s20
	s_add_u32 s23, s3, 2
	s_addc_u32 s24, s16, 0
	s_add_i32 s18, s18, s21
	s_cmp_lg_u32 s10, 0
	v_readfirstlane_b32 s10, v2
	s_subb_u32 s11, s11, s18
	s_cmp_lg_u32 s22, 0
	s_subb_u32 s18, s11, 0
	s_delay_alu instid0(VALU_DEP_1) | instskip(SKIP_4) | instid1(SALU_CYCLE_1)
	s_cmp_ge_u32 s10, s20
	s_cselect_b32 s10, -1, 0
	s_cmp_eq_u32 s18, 0
	v_readfirstlane_b32 s18, v1
	s_cselect_b32 s10, s10, -1
	s_cmp_lg_u32 s10, 0
	s_cselect_b32 s10, s23, s17
	s_cselect_b32 s17, s24, s19
	s_cmp_ge_u32 s18, s20
	s_cselect_b32 s18, -1, 0
	s_cmp_eq_u32 s11, 0
	s_cselect_b32 s11, s18, -1
	s_delay_alu instid0(SALU_CYCLE_1) | instskip(SKIP_2) | instid1(SALU_CYCLE_1)
	s_cmp_lg_u32 s11, 0
	s_cselect_b32 s11, s17, s16
	s_cselect_b32 s10, s10, s3
	s_xor_b64 s[10:11], s[10:11], s[8:9]
	s_delay_alu instid0(SALU_CYCLE_1)
	s_sub_u32 s16, s10, s8
	s_load_b128 s[8:11], s[0:1], 0x44
	s_and_not1_b32 vcc_lo, exec_lo, s2
	s_cbranch_vccnz .LBB18_3
.LBB18_2:
	v_cvt_f32_u32_e32 v1, s20
	s_sub_i32 s3, 0, s20
	s_delay_alu instid0(VALU_DEP_1) | instskip(SKIP_2) | instid1(VALU_DEP_1)
	v_rcp_iflag_f32_e32 v1, v1
	s_waitcnt_depctr 0xfff
	v_mul_f32_e32 v1, 0x4f7ffffe, v1
	v_cvt_u32_f32_e32 v1, v1
	s_delay_alu instid0(VALU_DEP_1) | instskip(NEXT) | instid1(VALU_DEP_1)
	v_readfirstlane_b32 s2, v1
	s_mul_i32 s3, s3, s2
	s_delay_alu instid0(SALU_CYCLE_1) | instskip(NEXT) | instid1(SALU_CYCLE_1)
	s_mul_hi_u32 s3, s2, s3
	s_add_i32 s2, s2, s3
	s_delay_alu instid0(SALU_CYCLE_1) | instskip(NEXT) | instid1(SALU_CYCLE_1)
	s_mul_hi_u32 s2, s12, s2
	s_mul_i32 s3, s2, s20
	s_waitcnt lgkmcnt(0)
	s_add_i32 s11, s2, 1
	s_sub_i32 s3, s12, s3
	s_delay_alu instid0(SALU_CYCLE_1)
	s_sub_i32 s12, s3, s20
	s_cmp_ge_u32 s3, s20
	s_cselect_b32 s2, s11, s2
	s_cselect_b32 s3, s12, s3
	s_add_i32 s11, s2, 1
	s_cmp_ge_u32 s3, s20
	s_cselect_b32 s16, s11, s2
.LBB18_3:
	s_waitcnt lgkmcnt(0)
	s_add_i32 s11, s13, 1
	s_mov_b32 s2, 0
	s_mul_hi_i32 s3, s7, s11
	s_mul_i32 s11, s7, s11
	s_cmp_lg_u64 s[2:3], 0
	s_cbranch_scc0 .LBB18_22
; %bb.4:
	v_cvt_f32_ubyte0_e32 v1, 0
	v_cvt_f32_u32_e32 v2, s20
	s_sub_u32 s18, 0, s20
	s_subb_u32 s19, 0, 0
	s_delay_alu instid0(VALU_DEP_1) | instskip(NEXT) | instid1(VALU_DEP_1)
	v_fmamk_f32 v1, v1, 0x4f800000, v2
	v_rcp_f32_e32 v1, v1
	s_waitcnt_depctr 0xfff
	v_mul_f32_e32 v1, 0x5f7ffffc, v1
	s_delay_alu instid0(VALU_DEP_1) | instskip(NEXT) | instid1(VALU_DEP_1)
	v_mul_f32_e32 v2, 0x2f800000, v1
	v_trunc_f32_e32 v2, v2
	s_delay_alu instid0(VALU_DEP_1) | instskip(SKIP_1) | instid1(VALU_DEP_2)
	v_fmamk_f32 v1, v2, 0xcf800000, v1
	v_cvt_u32_f32_e32 v2, v2
	v_cvt_u32_f32_e32 v1, v1
	s_delay_alu instid0(VALU_DEP_2) | instskip(NEXT) | instid1(VALU_DEP_2)
	v_readfirstlane_b32 s12, v2
	v_readfirstlane_b32 s17, v1
	s_delay_alu instid0(VALU_DEP_2) | instskip(NEXT) | instid1(VALU_DEP_1)
	s_mul_i32 s21, s18, s12
	s_mul_hi_u32 s23, s18, s17
	s_mul_i32 s22, s19, s17
	s_add_i32 s21, s23, s21
	s_mul_i32 s24, s18, s17
	s_add_i32 s21, s21, s22
	s_mul_hi_u32 s23, s17, s24
	s_mul_hi_u32 s25, s12, s24
	s_mul_i32 s22, s12, s24
	s_mul_hi_u32 s24, s17, s21
	s_mul_i32 s17, s17, s21
	s_mul_hi_u32 s26, s12, s21
	s_add_u32 s17, s23, s17
	s_addc_u32 s23, 0, s24
	s_add_u32 s17, s17, s22
	s_mul_i32 s21, s12, s21
	s_addc_u32 s17, s23, s25
	s_addc_u32 s22, s26, 0
	s_add_u32 s17, s17, s21
	s_addc_u32 s21, 0, s22
	v_add_co_u32 v1, s17, v1, s17
	s_delay_alu instid0(VALU_DEP_1) | instskip(SKIP_1) | instid1(VALU_DEP_1)
	s_cmp_lg_u32 s17, 0
	s_addc_u32 s12, s12, s21
	v_readfirstlane_b32 s17, v1
	s_mul_i32 s21, s18, s12
	s_delay_alu instid0(VALU_DEP_1)
	s_mul_hi_u32 s22, s18, s17
	s_mul_i32 s19, s19, s17
	s_add_i32 s21, s22, s21
	s_mul_i32 s18, s18, s17
	s_add_i32 s21, s21, s19
	s_mul_hi_u32 s22, s12, s18
	s_mul_i32 s23, s12, s18
	s_mul_hi_u32 s18, s17, s18
	s_mul_hi_u32 s24, s17, s21
	s_mul_i32 s17, s17, s21
	s_mul_hi_u32 s19, s12, s21
	s_add_u32 s17, s18, s17
	s_addc_u32 s18, 0, s24
	s_add_u32 s17, s17, s23
	s_mul_i32 s21, s12, s21
	s_addc_u32 s17, s18, s22
	s_addc_u32 s18, s19, 0
	s_add_u32 s17, s17, s21
	s_addc_u32 s18, 0, s18
	v_add_co_u32 v1, s17, v1, s17
	s_delay_alu instid0(VALU_DEP_1) | instskip(SKIP_2) | instid1(SALU_CYCLE_1)
	s_cmp_lg_u32 s17, 0
	s_addc_u32 s12, s12, s18
	s_ashr_i32 s18, s3, 31
	s_add_u32 s22, s11, s18
	s_addc_u32 s23, s3, s18
	v_readfirstlane_b32 s3, v1
	s_mov_b32 s19, s18
	s_delay_alu instid0(SALU_CYCLE_1) | instskip(NEXT) | instid1(SALU_CYCLE_1)
	s_xor_b64 s[22:23], s[22:23], s[18:19]
	s_mul_i32 s21, s22, s12
	s_delay_alu instid0(VALU_DEP_1)
	s_mul_hi_u32 s24, s22, s3
	s_mul_hi_u32 s17, s22, s12
	;; [unrolled: 1-line block ×3, first 2 shown]
	s_mul_i32 s3, s23, s3
	s_add_u32 s21, s24, s21
	s_addc_u32 s17, 0, s17
	s_mul_hi_u32 s25, s23, s12
	s_add_u32 s3, s21, s3
	s_mul_i32 s12, s23, s12
	s_addc_u32 s3, s17, s26
	s_addc_u32 s17, s25, 0
	s_add_u32 s3, s3, s12
	s_addc_u32 s12, 0, s17
	s_mul_i32 s21, s20, s3
	s_add_u32 s17, s3, 1
	v_sub_co_u32 v1, s21, s22, s21
	s_mul_hi_u32 s22, s20, s3
	s_addc_u32 s24, s12, 0
	s_mul_i32 s25, s20, s12
	s_delay_alu instid0(VALU_DEP_1)
	v_sub_co_u32 v2, s26, v1, s20
	s_add_u32 s27, s3, 2
	s_addc_u32 s28, s12, 0
	s_add_i32 s22, s22, s25
	s_cmp_lg_u32 s21, 0
	v_readfirstlane_b32 s21, v2
	s_subb_u32 s22, s23, s22
	s_cmp_lg_u32 s26, 0
	s_subb_u32 s23, s22, 0
	s_delay_alu instid0(VALU_DEP_1) | instskip(SKIP_4) | instid1(SALU_CYCLE_1)
	s_cmp_ge_u32 s21, s20
	s_cselect_b32 s21, -1, 0
	s_cmp_eq_u32 s23, 0
	v_readfirstlane_b32 s23, v1
	s_cselect_b32 s21, s21, -1
	s_cmp_lg_u32 s21, 0
	s_cselect_b32 s17, s27, s17
	s_cselect_b32 s21, s28, s24
	s_cmp_ge_u32 s23, s20
	s_cselect_b32 s23, -1, 0
	s_cmp_eq_u32 s22, 0
	s_cselect_b32 s22, s23, -1
	s_delay_alu instid0(SALU_CYCLE_1) | instskip(SKIP_2) | instid1(SALU_CYCLE_1)
	s_cmp_lg_u32 s22, 0
	s_cselect_b32 s23, s21, s12
	s_cselect_b32 s22, s17, s3
	s_xor_b64 s[22:23], s[22:23], s[18:19]
	s_delay_alu instid0(SALU_CYCLE_1)
	s_sub_u32 s18, s22, s18
	s_and_not1_b32 vcc_lo, exec_lo, s2
	s_cbranch_vccnz .LBB18_6
.LBB18_5:
	v_cvt_f32_u32_e32 v1, s20
	s_sub_i32 s3, 0, s20
	s_delay_alu instid0(VALU_DEP_1) | instskip(SKIP_2) | instid1(VALU_DEP_1)
	v_rcp_iflag_f32_e32 v1, v1
	s_waitcnt_depctr 0xfff
	v_mul_f32_e32 v1, 0x4f7ffffe, v1
	v_cvt_u32_f32_e32 v1, v1
	s_delay_alu instid0(VALU_DEP_1) | instskip(NEXT) | instid1(VALU_DEP_1)
	v_readfirstlane_b32 s2, v1
	s_mul_i32 s3, s3, s2
	s_delay_alu instid0(SALU_CYCLE_1) | instskip(NEXT) | instid1(SALU_CYCLE_1)
	s_mul_hi_u32 s3, s2, s3
	s_add_i32 s2, s2, s3
	s_delay_alu instid0(SALU_CYCLE_1) | instskip(NEXT) | instid1(SALU_CYCLE_1)
	s_mul_hi_u32 s2, s11, s2
	s_mul_i32 s3, s2, s20
	s_delay_alu instid0(SALU_CYCLE_1)
	s_sub_i32 s3, s11, s3
	s_add_i32 s11, s2, 1
	s_sub_i32 s12, s3, s20
	s_cmp_ge_u32 s3, s20
	s_cselect_b32 s2, s11, s2
	s_cselect_b32 s3, s12, s3
	s_add_i32 s11, s2, 1
	s_cmp_ge_u32 s3, s20
	s_cselect_b32 s18, s11, s2
.LBB18_6:
	s_delay_alu instid0(SALU_CYCLE_1) | instskip(SKIP_3) | instid1(SALU_CYCLE_1)
	s_cmp_eq_u32 s16, s18
	s_mul_hi_u32 s2, s16, s8
	s_cselect_b32 s3, -1, 0
	s_add_i32 s2, s2, s16
	s_lshr_b32 s11, s2, s9
	s_delay_alu instid0(SALU_CYCLE_1) | instskip(NEXT) | instid1(SALU_CYCLE_1)
	s_mul_i32 s2, s11, s10
	s_cmp_eq_u32 s2, s16
	s_mul_hi_u32 s2, s18, s8
	s_cselect_b32 s12, -1, 0
	s_add_i32 s2, s2, s18
	s_delay_alu instid0(SALU_CYCLE_1) | instskip(NEXT) | instid1(SALU_CYCLE_1)
	s_lshr_b32 s2, s2, s9
	s_cmp_eq_u32 s11, s2
	s_mul_i32 s2, s2, s10
	s_cselect_b32 s17, -1, 0
	s_cmp_lg_u32 s2, s18
	s_cselect_b32 s2, -1, 0
	s_or_b32 s3, s3, s12
	s_and_b32 s2, s17, s2
	s_delay_alu instid0(SALU_CYCLE_1) | instskip(NEXT) | instid1(SALU_CYCLE_1)
	s_or_b32 s2, s3, s2
	s_and_b32 vcc_lo, exec_lo, s2
	s_cbranch_vccnz .LBB18_24
; %bb.7:
	s_load_b256 s[24:31], s[0:1], 0x20
	s_waitcnt lgkmcnt(0)
	s_mul_hi_u32 s2, s16, s24
	s_delay_alu instid0(SALU_CYCLE_1) | instskip(NEXT) | instid1(SALU_CYCLE_1)
	s_add_i32 s2, s2, s16
	s_lshr_b32 s17, s2, s25
	s_load_b32 s2, s[0:1], 0x40
	s_mul_i32 s3, s17, s26
	s_delay_alu instid0(SALU_CYCLE_1) | instskip(NEXT) | instid1(SALU_CYCLE_1)
	s_sub_i32 s3, s16, s3
	s_mul_hi_u32 s12, s3, s27
	s_delay_alu instid0(SALU_CYCLE_1) | instskip(NEXT) | instid1(SALU_CYCLE_1)
	s_add_i32 s12, s3, s12
	s_lshr_b32 s18, s12, s28
	s_delay_alu instid0(SALU_CYCLE_1) | instskip(NEXT) | instid1(SALU_CYCLE_1)
	s_mul_i32 s12, s18, s29
	s_sub_i32 s3, s3, s12
	s_delay_alu instid0(SALU_CYCLE_1) | instskip(NEXT) | instid1(SALU_CYCLE_1)
	s_mul_hi_u32 s12, s3, s30
	s_add_i32 s12, s3, s12
	s_delay_alu instid0(SALU_CYCLE_1)
	s_lshr_b32 s12, s12, s31
	s_waitcnt lgkmcnt(0)
	s_mul_i32 s2, s12, s2
	s_lshl_b32 s21, s12, 3
	s_sub_i32 s2, s3, s2
	s_mov_b32 s12, 0
	s_mul_hi_u32 s3, s2, s8
	s_delay_alu instid0(SALU_CYCLE_1) | instskip(NEXT) | instid1(SALU_CYCLE_1)
	s_add_i32 s2, s2, s3
	s_lshr_b32 s19, s2, s9
	s_delay_alu instid0(SALU_CYCLE_1) | instskip(NEXT) | instid1(SALU_CYCLE_1)
	s_add_i32 s19, s19, s14
	s_cmp_lt_i32 s19, s4
	s_cselect_b32 s2, -1, 0
	s_add_i32 s21, s21, s15
	s_delay_alu instid0(SALU_CYCLE_1) | instskip(SKIP_1) | instid1(SALU_CYCLE_1)
	s_cmp_lt_i32 s21, s6
	s_cselect_b32 s3, -1, 0
	s_and_b32 s2, s2, s3
	s_delay_alu instid0(SALU_CYCLE_1)
	s_and_not1_b32 vcc_lo, exec_lo, s2
	s_cbranch_vccnz .LBB18_24
; %bb.8:
	s_load_b128 s[0:3], s[0:1], 0x0
	s_lshl_b32 s22, s20, 5
	s_mov_b32 s23, s12
	s_mul_i32 s4, s17, s4
	s_lshl_b64 s[22:23], s[22:23], 2
	s_mul_i32 s18, s18, s6
	v_cvt_f32_ubyte0_e32 v4, 0
	v_cvt_f32_u32_e32 v5, s20
	s_waitcnt lgkmcnt(0)
	s_add_u32 s6, s2, s22
	s_addc_u32 s17, s3, s23
	s_add_i32 s4, s19, s4
	s_add_i32 s18, s21, s18
	s_mul_i32 s4, s4, s5
	s_delay_alu instid0(SALU_CYCLE_1) | instskip(NEXT) | instid1(SALU_CYCLE_1)
	s_add_i32 s18, s18, s4
	v_lshl_or_b32 v1, s18, 7, v0
	v_lshl_or_b32 v0, s15, 7, v0
	s_delay_alu instid0(VALU_DEP_2) | instskip(NEXT) | instid1(VALU_DEP_1)
	v_ashrrev_i32_e32 v2, 31, v1
	v_lshlrev_b64 v[1:2], 2, v[1:2]
	s_delay_alu instid0(VALU_DEP_1) | instskip(NEXT) | instid1(VALU_DEP_2)
	v_add_co_u32 v1, vcc_lo, s0, v1
	v_add_co_ci_u32_e32 v2, vcc_lo, s1, v2, vcc_lo
	s_add_i32 s0, s14, s13
	s_delay_alu instid0(SALU_CYCLE_1) | instskip(SKIP_2) | instid1(SALU_CYCLE_1)
	s_lshl_b32 s0, s0, 3
	global_load_b32 v3, v[1:2], off
	s_add_i32 s0, s0, s15
	s_ashr_i32 s1, s0, 31
	s_delay_alu instid0(SALU_CYCLE_1) | instskip(NEXT) | instid1(SALU_CYCLE_1)
	s_lshl_b64 s[0:1], s[0:1], 3
	s_add_u32 s0, s2, s0
	s_addc_u32 s1, s3, s1
	s_add_i32 s19, s13, -1
	s_load_b64 s[0:1], s[0:1], 0x0
	v_fmac_f32_e32 v5, 0x4f800000, v4
	s_sub_i32 s18, 0, s20
	s_waitcnt lgkmcnt(0)
	v_mov_b32_e32 v8, s0
	s_delay_alu instid0(VALU_DEP_2) | instskip(SKIP_2) | instid1(VALU_DEP_2)
	v_rcp_f32_e32 v4, v5
	v_cvt_f32_u32_e32 v5, s20
	v_mov_b32_e32 v7, s1
	v_rcp_iflag_f32_e32 v5, v5
	s_waitcnt_depctr 0xfff
	v_mul_f32_e32 v4, 0x5f7ffffc, v4
	s_delay_alu instid0(VALU_DEP_1) | instskip(SKIP_1) | instid1(VALU_DEP_2)
	v_mul_f32_e32 v6, 0x2f800000, v4
	v_mul_f32_e32 v9, 0x4f7ffffe, v5
	v_trunc_f32_e32 v6, v6
	s_delay_alu instid0(VALU_DEP_1) | instskip(SKIP_1) | instid1(VALU_DEP_4)
	v_fmac_f32_e32 v4, 0xcf800000, v6
	v_cvt_u32_f32_e32 v5, v6
	v_cvt_u32_f32_e32 v6, v9
	s_delay_alu instid0(VALU_DEP_3)
	v_cvt_u32_f32_e32 v4, v4
.LBB18_9:                               ; =>This Inner Loop Header: Depth=1
	s_mul_hi_i32 s13, s19, s7
	s_mul_i32 s4, s19, s7
	s_cmp_lg_u64 s[12:13], 0
	s_mov_b32 s5, -1
                                        ; implicit-def: $sgpr0_sgpr1
	s_cbranch_scc0 .LBB18_11
; %bb.10:                               ;   in Loop: Header=BB18_9 Depth=1
	v_readfirstlane_b32 s0, v4
	v_readfirstlane_b32 s1, v5
	s_sub_u32 s5, 0, s20
	s_subb_u32 s21, 0, 0
	s_delay_alu instid0(VALU_DEP_2) | instskip(NEXT) | instid1(VALU_DEP_1)
	s_mul_hi_u32 s22, s5, s0
	s_mul_i32 s23, s5, s1
	s_mul_i32 s24, s21, s0
	s_add_i32 s22, s22, s23
	s_mul_i32 s23, s5, s0
	s_add_i32 s22, s22, s24
	s_mul_hi_u32 s24, s0, s23
	s_mul_i32 s25, s0, s22
	s_mul_hi_u32 s0, s0, s22
	s_add_u32 s24, s24, s25
	s_mul_i32 s26, s1, s23
	s_addc_u32 s0, 0, s0
	s_mul_hi_u32 s23, s1, s23
	s_mul_hi_u32 s25, s1, s22
	s_add_u32 s24, s24, s26
	s_addc_u32 s0, s0, s23
	s_mul_i32 s22, s1, s22
	s_addc_u32 s23, s25, 0
	s_add_u32 s0, s0, s22
	s_addc_u32 s22, 0, s23
	v_add_co_u32 v9, s0, v4, s0
	s_delay_alu instid0(VALU_DEP_1) | instskip(SKIP_1) | instid1(VALU_DEP_1)
	s_cmp_lg_u32 s0, 0
	s_addc_u32 s1, s1, s22
	v_readfirstlane_b32 s0, v9
	s_mul_i32 s22, s5, s1
	s_delay_alu instid0(VALU_DEP_1)
	s_mul_hi_u32 s23, s5, s0
	s_mul_i32 s21, s21, s0
	s_add_i32 s22, s23, s22
	s_mul_i32 s5, s5, s0
	s_add_i32 s22, s22, s21
	s_mul_hi_u32 s21, s1, s5
	s_mul_i32 s24, s1, s5
	s_mul_i32 s25, s0, s22
	s_mul_hi_u32 s5, s0, s5
	s_mul_hi_u32 s0, s0, s22
	s_add_u32 s5, s5, s25
	s_addc_u32 s0, 0, s0
	s_mul_hi_u32 s23, s1, s22
	s_add_u32 s5, s5, s24
	s_addc_u32 s0, s0, s21
	s_mul_i32 s5, s1, s22
	s_addc_u32 s21, s23, 0
	s_add_u32 s0, s0, s5
	s_addc_u32 s5, 0, s21
	v_add_co_u32 v9, s0, v9, s0
	s_delay_alu instid0(VALU_DEP_1) | instskip(SKIP_2) | instid1(SALU_CYCLE_1)
	s_cmp_lg_u32 s0, 0
	s_addc_u32 s5, s1, s5
	s_ashr_i32 s0, s13, 31
	s_add_u32 s22, s4, s0
	s_addc_u32 s23, s13, s0
	v_readfirstlane_b32 s13, v9
	s_mov_b32 s1, s0
	s_delay_alu instid0(SALU_CYCLE_1) | instskip(NEXT) | instid1(SALU_CYCLE_1)
	s_xor_b64 s[22:23], s[22:23], s[0:1]
	s_mul_i32 s21, s22, s5
	s_delay_alu instid0(VALU_DEP_1)
	s_mul_hi_u32 s24, s22, s13
	s_mul_hi_u32 s25, s22, s5
	s_add_u32 s21, s24, s21
	s_mul_i32 s26, s23, s13
	s_addc_u32 s24, 0, s25
	s_mul_hi_u32 s13, s23, s13
	s_mul_hi_u32 s25, s23, s5
	s_add_u32 s21, s21, s26
	s_addc_u32 s13, s24, s13
	s_mul_i32 s5, s23, s5
	s_addc_u32 s21, s25, 0
	s_add_u32 s5, s13, s5
	s_addc_u32 s13, 0, s21
	s_mul_i32 s24, s20, s5
	s_add_u32 s21, s5, 1
	v_sub_co_u32 v9, s22, s22, s24
	s_addc_u32 s24, s13, 0
	s_mul_i32 s26, s20, s13
	s_mul_hi_u32 s28, s20, s5
	s_delay_alu instid0(VALU_DEP_1)
	v_sub_co_u32 v10, s27, v9, s20
	s_add_u32 s25, s5, 2
	s_addc_u32 s29, s13, 0
	s_add_i32 s28, s28, s26
	s_cmp_lg_u32 s22, 0
	v_readfirstlane_b32 s22, v10
	s_subb_u32 s23, s23, s28
	s_cmp_lg_u32 s27, 0
	s_subb_u32 s26, s23, 0
	s_delay_alu instid0(VALU_DEP_1) | instskip(SKIP_4) | instid1(SALU_CYCLE_1)
	s_cmp_ge_u32 s22, s20
	s_cselect_b32 s22, -1, 0
	s_cmp_eq_u32 s26, 0
	v_readfirstlane_b32 s26, v9
	s_cselect_b32 s22, s22, -1
	s_cmp_lg_u32 s22, 0
	s_cselect_b32 s21, s25, s21
	s_cselect_b32 s22, s29, s24
	s_cmp_ge_u32 s26, s20
	s_cselect_b32 s24, -1, 0
	s_cmp_eq_u32 s23, 0
	s_cselect_b32 s23, s24, -1
	s_delay_alu instid0(SALU_CYCLE_1) | instskip(SKIP_4) | instid1(SALU_CYCLE_1)
	s_cmp_lg_u32 s23, 0
	s_cselect_b32 s23, s22, s13
	s_cselect_b32 s22, s21, s5
	s_mov_b32 s5, 0
	s_xor_b64 s[22:23], s[22:23], s[0:1]
	s_sub_u32 s0, s22, s0
.LBB18_11:                              ;   in Loop: Header=BB18_9 Depth=1
	s_and_not1_b32 vcc_lo, exec_lo, s5
	s_cbranch_vccnz .LBB18_13
; %bb.12:                               ;   in Loop: Header=BB18_9 Depth=1
	v_readfirstlane_b32 s0, v6
	s_delay_alu instid0(VALU_DEP_1) | instskip(NEXT) | instid1(SALU_CYCLE_1)
	s_mul_i32 s1, s18, s0
	s_mul_hi_u32 s1, s0, s1
	s_delay_alu instid0(SALU_CYCLE_1) | instskip(NEXT) | instid1(SALU_CYCLE_1)
	s_add_i32 s0, s0, s1
	s_mul_hi_u32 s0, s4, s0
	s_delay_alu instid0(SALU_CYCLE_1) | instskip(NEXT) | instid1(SALU_CYCLE_1)
	s_mul_i32 s1, s0, s20
	s_sub_i32 s1, s4, s1
	s_add_i32 s4, s0, 1
	s_sub_i32 s5, s1, s20
	s_cmp_ge_u32 s1, s20
	s_cselect_b32 s0, s4, s0
	s_cselect_b32 s1, s5, s1
	s_add_i32 s4, s0, 1
	s_cmp_ge_u32 s1, s20
	s_cselect_b32 s0, s4, s0
.LBB18_13:                              ;   in Loop: Header=BB18_9 Depth=1
	s_delay_alu instid0(SALU_CYCLE_1)
	s_cmp_lg_u32 s16, s0
	s_cbranch_scc0 .LBB18_17
; %bb.14:                               ;   in Loop: Header=BB18_9 Depth=1
	s_add_i32 s22, s19, s14
	s_mov_b32 s5, s12
	s_add_i32 s1, s22, s20
	s_mov_b32 s21, s16
	s_lshl_b32 s1, s1, 3
	s_delay_alu instid0(SALU_CYCLE_1) | instskip(SKIP_2) | instid1(SALU_CYCLE_1)
	s_add_i32 s4, s1, s15
	s_mul_hi_u32 s1, s0, s8
	s_lshl_b64 s[4:5], s[4:5], 3
	s_add_u32 s4, s2, s4
	s_addc_u32 s5, s3, s5
	s_add_i32 s1, s1, s0
	s_delay_alu instid0(SALU_CYCLE_1) | instskip(NEXT) | instid1(SALU_CYCLE_1)
	s_lshr_b32 s1, s1, s9
	s_mul_i32 s13, s1, s10
	s_delay_alu instid0(SALU_CYCLE_1) | instskip(SKIP_3) | instid1(SALU_CYCLE_1)
	s_cmp_eq_u32 s13, s0
	s_cselect_b32 s13, -1, 0
	s_cmp_lt_u32 s1, s11
	s_cselect_b32 s1, -1, 0
	s_or_b32 s1, s1, s13
	s_mov_b32 s13, -1
	s_and_b32 vcc_lo, exec_lo, s1
	s_mov_b32 s1, s19
	s_cbranch_vccnz .LBB18_16
; %bb.15:                               ;   in Loop: Header=BB18_9 Depth=1
	s_add_i32 s1, s19, -1
	s_mov_b32 s13, 0
	s_mov_b32 s21, s0
.LBB18_16:                              ;   in Loop: Header=BB18_9 Depth=1
	v_lshl_add_u32 v9, s22, 10, v0
	s_load_b64 s[4:5], s[4:5], 0x0
	s_delay_alu instid0(VALU_DEP_1) | instskip(NEXT) | instid1(VALU_DEP_1)
	v_ashrrev_i32_e32 v10, 31, v9
	v_lshlrev_b64 v[9:10], 2, v[9:10]
	s_delay_alu instid0(VALU_DEP_1) | instskip(NEXT) | instid1(VALU_DEP_2)
	v_add_co_u32 v9, vcc_lo, s6, v9
	v_add_co_ci_u32_e32 v10, vcc_lo, s17, v10, vcc_lo
	s_waitcnt lgkmcnt(0)
	v_max_f32_e64 v11, s4, s4
	global_load_b32 v10, v[9:10], off
	v_max_f32_e32 v9, v8, v8
	s_delay_alu instid0(VALU_DEP_1) | instskip(NEXT) | instid1(VALU_DEP_1)
	v_max_f32_e32 v9, v9, v11
	v_sub_f32_e32 v12, v8, v9
	s_delay_alu instid0(VALU_DEP_1) | instskip(NEXT) | instid1(VALU_DEP_1)
	v_dual_mul_f32 v14, 0x3fb8aa3b, v12 :: v_dual_sub_f32 v11, s4, v9
	v_rndne_f32_e32 v18, v14
	s_delay_alu instid0(VALU_DEP_2) | instskip(SKIP_2) | instid1(VALU_DEP_4)
	v_mul_f32_e32 v13, 0x3fb8aa3b, v11
	v_fma_f32 v17, 0x3fb8aa3b, v12, -v14
	v_cmp_ngt_f32_e32 vcc_lo, 0xc2ce8ed0, v11
	v_sub_f32_e32 v14, v14, v18
	s_delay_alu instid0(VALU_DEP_4) | instskip(SKIP_2) | instid1(VALU_DEP_3)
	v_fma_f32 v15, 0x3fb8aa3b, v11, -v13
	v_rndne_f32_e32 v16, v13
	v_fmac_f32_e32 v17, 0x32a5705f, v12
	v_fmac_f32_e32 v15, 0x32a5705f, v11
	s_delay_alu instid0(VALU_DEP_2) | instskip(NEXT) | instid1(VALU_DEP_1)
	v_dual_sub_f32 v13, v13, v16 :: v_dual_add_f32 v14, v14, v17
	v_add_f32_e32 v13, v13, v15
	s_delay_alu instid0(VALU_DEP_2) | instskip(SKIP_2) | instid1(VALU_DEP_3)
	v_exp_f32_e32 v14, v14
	v_cvt_i32_f32_e32 v15, v16
	v_cvt_i32_f32_e32 v16, v18
	v_exp_f32_e32 v13, v13
	s_waitcnt_depctr 0xfff
	v_ldexp_f32 v14, v14, v16
	v_ldexp_f32 v13, v13, v15
	s_delay_alu instid0(VALU_DEP_1) | instskip(SKIP_1) | instid1(VALU_DEP_4)
	v_cndmask_b32_e32 v13, 0, v13, vcc_lo
	v_cmp_ngt_f32_e32 vcc_lo, 0xc2ce8ed0, v12
	v_cndmask_b32_e32 v14, 0, v14, vcc_lo
	v_cmp_nlt_f32_e32 vcc_lo, 0x42b17218, v11
	s_delay_alu instid0(VALU_DEP_4) | instskip(SKIP_1) | instid1(VALU_DEP_4)
	v_cndmask_b32_e32 v13, 0x7f800000, v13, vcc_lo
	v_cmp_nlt_f32_e32 vcc_lo, 0x42b17218, v12
	v_cndmask_b32_e32 v14, 0x7f800000, v14, vcc_lo
	v_cmp_le_f32_e32 vcc_lo, 0xc1a00000, v11
	s_delay_alu instid0(VALU_DEP_4) | instskip(SKIP_1) | instid1(VALU_DEP_4)
	v_cndmask_b32_e32 v11, 0, v13, vcc_lo
	v_cmp_le_f32_e32 vcc_lo, 0xc1a00000, v12
	v_cndmask_b32_e32 v12, 0, v14, vcc_lo
	s_waitcnt vmcnt(0)
	s_delay_alu instid0(VALU_DEP_3) | instskip(NEXT) | instid1(VALU_DEP_1)
	v_mul_f32_e32 v10, v10, v11
	v_dual_mul_f32 v11, s5, v11 :: v_dual_fmac_f32 v10, v3, v12
	s_delay_alu instid0(VALU_DEP_1)
	v_fmac_f32_e32 v11, v7, v12
	s_cbranch_execz .LBB18_18
	s_branch .LBB18_19
.LBB18_17:                              ;   in Loop: Header=BB18_9 Depth=1
                                        ; implicit-def: $sgpr13
                                        ; implicit-def: $vgpr10
                                        ; implicit-def: $vgpr9
                                        ; implicit-def: $vgpr11
                                        ; implicit-def: $sgpr1
                                        ; implicit-def: $sgpr21
.LBB18_18:                              ;   in Loop: Header=BB18_9 Depth=1
	v_mov_b32_e32 v11, v7
	s_waitcnt vmcnt(0)
	v_dual_mov_b32 v9, v8 :: v_dual_mov_b32 v10, v3
	s_add_i32 s1, s19, -1
	s_mov_b32 s13, 0
	s_mov_b32 s21, s16
.LBB18_19:                              ;   in Loop: Header=BB18_9 Depth=1
	s_and_not1_b32 vcc_lo, exec_lo, s13
	s_cbranch_vccz .LBB18_23
; %bb.20:                               ;   in Loop: Header=BB18_9 Depth=1
	v_dual_mov_b32 v7, v11 :: v_dual_mov_b32 v8, v9
	s_waitcnt vmcnt(0)
	v_mov_b32_e32 v3, v10
	s_mov_b32 s16, s21
	s_mov_b32 s19, s1
	s_branch .LBB18_9
.LBB18_21:
                                        ; implicit-def: $sgpr16_sgpr17
	s_load_b128 s[8:11], s[0:1], 0x44
	s_branch .LBB18_2
.LBB18_22:
                                        ; implicit-def: $sgpr18_sgpr19
	s_branch .LBB18_5
.LBB18_23:
	v_div_scale_f32 v0, null, v11, v11, v10
	s_waitcnt vmcnt(0)
	s_delay_alu instid0(VALU_DEP_1) | instskip(SKIP_2) | instid1(VALU_DEP_1)
	v_rcp_f32_e32 v3, v0
	s_waitcnt_depctr 0xfff
	v_fma_f32 v4, -v0, v3, 1.0
	v_fmac_f32_e32 v3, v4, v3
	v_div_scale_f32 v4, vcc_lo, v10, v11, v10
	s_delay_alu instid0(VALU_DEP_1) | instskip(NEXT) | instid1(VALU_DEP_1)
	v_mul_f32_e32 v5, v4, v3
	v_fma_f32 v6, -v0, v5, v4
	s_delay_alu instid0(VALU_DEP_1) | instskip(NEXT) | instid1(VALU_DEP_1)
	v_fmac_f32_e32 v5, v6, v3
	v_fma_f32 v0, -v0, v5, v4
	s_delay_alu instid0(VALU_DEP_1) | instskip(NEXT) | instid1(VALU_DEP_1)
	v_div_fmas_f32 v0, v0, v3, v5
	v_div_fixup_f32 v0, v0, v11, v10
	global_store_b32 v[1:2], v0, off
.LBB18_24:
	s_nop 0
	s_sendmsg sendmsg(MSG_DEALLOC_VGPRS)
	s_endpgm
	.section	.rodata,"a",@progbits
	.p2align	6, 0x0
	.amdhsa_kernel _ZL33flash_attn_stream_k_fixup_generalILi128ELi1ELi8EEvPfPK15HIP_vector_typeIfLj2EEiiiiS1_IjLj3EES5_S5_S5_
		.amdhsa_group_segment_fixed_size 0
		.amdhsa_private_segment_fixed_size 0
		.amdhsa_kernarg_size 336
		.amdhsa_user_sgpr_count 13
		.amdhsa_user_sgpr_dispatch_ptr 0
		.amdhsa_user_sgpr_queue_ptr 0
		.amdhsa_user_sgpr_kernarg_segment_ptr 1
		.amdhsa_user_sgpr_dispatch_id 0
		.amdhsa_user_sgpr_private_segment_size 0
		.amdhsa_wavefront_size32 1
		.amdhsa_uses_dynamic_stack 0
		.amdhsa_enable_private_segment 0
		.amdhsa_system_sgpr_workgroup_id_x 1
		.amdhsa_system_sgpr_workgroup_id_y 1
		.amdhsa_system_sgpr_workgroup_id_z 1
		.amdhsa_system_sgpr_workgroup_info 0
		.amdhsa_system_vgpr_workitem_id 0
		.amdhsa_next_free_vgpr 19
		.amdhsa_next_free_sgpr 32
		.amdhsa_reserve_vcc 1
		.amdhsa_float_round_mode_32 0
		.amdhsa_float_round_mode_16_64 0
		.amdhsa_float_denorm_mode_32 3
		.amdhsa_float_denorm_mode_16_64 3
		.amdhsa_dx10_clamp 1
		.amdhsa_ieee_mode 1
		.amdhsa_fp16_overflow 0
		.amdhsa_workgroup_processor_mode 1
		.amdhsa_memory_ordered 1
		.amdhsa_forward_progress 0
		.amdhsa_shared_vgpr_count 0
		.amdhsa_exception_fp_ieee_invalid_op 0
		.amdhsa_exception_fp_denorm_src 0
		.amdhsa_exception_fp_ieee_div_zero 0
		.amdhsa_exception_fp_ieee_overflow 0
		.amdhsa_exception_fp_ieee_underflow 0
		.amdhsa_exception_fp_ieee_inexact 0
		.amdhsa_exception_int_div_zero 0
	.end_amdhsa_kernel
	.section	.text._ZL33flash_attn_stream_k_fixup_generalILi128ELi1ELi8EEvPfPK15HIP_vector_typeIfLj2EEiiiiS1_IjLj3EES5_S5_S5_,"axG",@progbits,_ZL33flash_attn_stream_k_fixup_generalILi128ELi1ELi8EEvPfPK15HIP_vector_typeIfLj2EEiiiiS1_IjLj3EES5_S5_S5_,comdat
.Lfunc_end18:
	.size	_ZL33flash_attn_stream_k_fixup_generalILi128ELi1ELi8EEvPfPK15HIP_vector_typeIfLj2EEiiiiS1_IjLj3EES5_S5_S5_, .Lfunc_end18-_ZL33flash_attn_stream_k_fixup_generalILi128ELi1ELi8EEvPfPK15HIP_vector_typeIfLj2EEiiiiS1_IjLj3EES5_S5_S5_
                                        ; -- End function
	.section	.AMDGPU.csdata,"",@progbits
; Kernel info:
; codeLenInByte = 3200
; NumSgprs: 34
; NumVgprs: 19
; ScratchSize: 0
; MemoryBound: 0
; FloatMode: 240
; IeeeMode: 1
; LDSByteSize: 0 bytes/workgroup (compile time only)
; SGPRBlocks: 4
; VGPRBlocks: 2
; NumSGPRsForWavesPerEU: 34
; NumVGPRsForWavesPerEU: 19
; Occupancy: 16
; WaveLimiterHint : 0
; COMPUTE_PGM_RSRC2:SCRATCH_EN: 0
; COMPUTE_PGM_RSRC2:USER_SGPR: 13
; COMPUTE_PGM_RSRC2:TRAP_HANDLER: 0
; COMPUTE_PGM_RSRC2:TGID_X_EN: 1
; COMPUTE_PGM_RSRC2:TGID_Y_EN: 1
; COMPUTE_PGM_RSRC2:TGID_Z_EN: 1
; COMPUTE_PGM_RSRC2:TIDIG_COMP_CNT: 0
	.section	.text._ZL15flash_attn_tileILi192ELi128ELi2ELi16ELb1EEvPKcS1_S1_S1_S1_PKiPfP15HIP_vector_typeIfLj2EEffffjfiS5_IjLj3EEiiiiiiiiiiiliiliiiiil,"axG",@progbits,_ZL15flash_attn_tileILi192ELi128ELi2ELi16ELb1EEvPKcS1_S1_S1_S1_PKiPfP15HIP_vector_typeIfLj2EEffffjfiS5_IjLj3EEiiiiiiiiiiiliiliiiiil,comdat
	.globl	_ZL15flash_attn_tileILi192ELi128ELi2ELi16ELb1EEvPKcS1_S1_S1_S1_PKiPfP15HIP_vector_typeIfLj2EEffffjfiS5_IjLj3EEiiiiiiiiiiiliiliiiiil ; -- Begin function _ZL15flash_attn_tileILi192ELi128ELi2ELi16ELb1EEvPKcS1_S1_S1_S1_PKiPfP15HIP_vector_typeIfLj2EEffffjfiS5_IjLj3EEiiiiiiiiiiiliiliiiiil
	.p2align	8
	.type	_ZL15flash_attn_tileILi192ELi128ELi2ELi16ELb1EEvPKcS1_S1_S1_S1_PKiPfP15HIP_vector_typeIfLj2EEffffjfiS5_IjLj3EEiiiiiiiiiiiliiliiiiil,@function
_ZL15flash_attn_tileILi192ELi128ELi2ELi16ELb1EEvPKcS1_S1_S1_S1_PKiPfP15HIP_vector_typeIfLj2EEffffjfiS5_IjLj3EEiiiiiiiiiiiliiliiiiil: ; @_ZL15flash_attn_tileILi192ELi128ELi2ELi16ELb1EEvPKcS1_S1_S1_S1_PKiPfP15HIP_vector_typeIfLj2EEffffjfiS5_IjLj3EEiiiiiiiiiiiliiliiiiil
; %bb.0:
	s_clause 0x1
	s_load_b128 s[4:7], s[0:1], 0x5c
	s_load_b64 s[34:35], s[0:1], 0x80
	s_mov_b64 s[36:37], 0
	s_waitcnt lgkmcnt(0)
	s_ashr_i32 s2, s7, 31
	s_delay_alu instid0(SALU_CYCLE_1) | instskip(NEXT) | instid1(SALU_CYCLE_1)
	s_lshr_b32 s2, s2, 28
	s_add_i32 s2, s7, s2
	s_delay_alu instid0(SALU_CYCLE_1) | instskip(NEXT) | instid1(SALU_CYCLE_1)
	s_ashr_i32 s2, s2, 4
	v_cvt_f32_u32_e32 v1, s2
	s_sub_i32 s8, 0, s2
	s_delay_alu instid0(VALU_DEP_1) | instskip(SKIP_2) | instid1(VALU_DEP_1)
	v_rcp_iflag_f32_e32 v1, v1
	s_waitcnt_depctr 0xfff
	v_mul_f32_e32 v1, 0x4f7ffffe, v1
	v_cvt_u32_f32_e32 v1, v1
	s_delay_alu instid0(VALU_DEP_1) | instskip(NEXT) | instid1(VALU_DEP_1)
	v_readfirstlane_b32 s3, v1
	s_mul_i32 s8, s8, s3
	s_delay_alu instid0(SALU_CYCLE_1) | instskip(NEXT) | instid1(SALU_CYCLE_1)
	s_mul_hi_u32 s8, s3, s8
	s_add_i32 s3, s3, s8
	s_delay_alu instid0(SALU_CYCLE_1) | instskip(NEXT) | instid1(SALU_CYCLE_1)
	s_mul_hi_u32 s3, s15, s3
	s_mul_i32 s8, s3, s2
	s_add_i32 s9, s3, 1
	s_sub_i32 s8, s15, s8
	s_delay_alu instid0(SALU_CYCLE_1)
	s_sub_i32 s10, s8, s2
	s_cmp_ge_u32 s8, s2
	s_cselect_b32 s3, s9, s3
	s_cselect_b32 s8, s10, s8
	s_add_i32 s9, s3, 1
	s_cmp_ge_u32 s8, s2
	s_cselect_b32 s12, s9, s3
	s_abs_i32 s2, s35
	s_abs_i32 s11, s7
	v_cvt_f32_u32_e32 v1, s2
	s_sub_i32 s8, 0, s2
	s_lshl_b32 s9, s15, 4
	s_mul_i32 s10, s12, s7
	s_delay_alu instid0(VALU_DEP_1) | instskip(SKIP_3) | instid1(VALU_DEP_1)
	v_rcp_iflag_f32_e32 v1, v1
	s_sub_i32 s15, s9, s10
	s_waitcnt_depctr 0xfff
	v_mul_f32_e32 v1, 0x4f7ffffe, v1
	v_cvt_u32_f32_e32 v1, v1
	s_delay_alu instid0(VALU_DEP_1) | instskip(NEXT) | instid1(VALU_DEP_1)
	v_readfirstlane_b32 s3, v1
	s_mul_i32 s8, s8, s3
	s_delay_alu instid0(SALU_CYCLE_1) | instskip(NEXT) | instid1(SALU_CYCLE_1)
	s_mul_hi_u32 s8, s3, s8
	s_add_i32 s3, s3, s8
	s_xor_b32 s8, s7, s35
	s_mul_hi_u32 s3, s11, s3
	s_ashr_i32 s8, s8, 31
	s_mul_i32 s9, s3, s2
	s_add_i32 s10, s3, 1
	s_sub_i32 s9, s11, s9
	s_delay_alu instid0(SALU_CYCLE_1)
	s_sub_i32 s11, s9, s2
	s_cmp_ge_u32 s9, s2
	s_cselect_b32 s3, s10, s3
	s_cselect_b32 s9, s11, s9
	s_add_i32 s10, s3, 1
	s_cmp_ge_u32 s9, s2
	s_cselect_b32 s2, s10, s3
	s_delay_alu instid0(SALU_CYCLE_1) | instskip(NEXT) | instid1(SALU_CYCLE_1)
	s_xor_b32 s2, s2, s8
	s_sub_i32 s35, s2, s8
	s_clause 0x1
	s_load_b512 s[16:31], s[0:1], 0x0
	s_load_b64 s[2:3], s[0:1], 0xb8
	s_abs_i32 s33, s35
	s_delay_alu instid0(SALU_CYCLE_1) | instskip(NEXT) | instid1(VALU_DEP_1)
	v_cvt_f32_u32_e32 v1, s33
	v_rcp_iflag_f32_e32 v1, v1
	s_waitcnt_depctr 0xfff
	v_mul_f32_e32 v1, 0x4f7ffffe, v1
	s_waitcnt lgkmcnt(0)
	s_cmp_eq_u64 s[22:23], 0
	s_delay_alu instid0(VALU_DEP_1) | instskip(NEXT) | instid1(VALU_DEP_1)
	v_cvt_u32_f32_e32 v1, v1
	v_readfirstlane_b32 s38, v1
	s_cbranch_scc1 .LBB19_2
; %bb.1:
	s_abs_i32 s2, s2
	s_abs_i32 s10, s12
	v_cvt_f32_u32_e32 v1, s2
	s_sub_i32 s9, 0, s2
	s_delay_alu instid0(VALU_DEP_1) | instskip(SKIP_2) | instid1(VALU_DEP_1)
	v_rcp_iflag_f32_e32 v1, v1
	s_waitcnt_depctr 0xfff
	v_mul_f32_e32 v1, 0x4f7ffffe, v1
	v_cvt_u32_f32_e32 v1, v1
	s_delay_alu instid0(VALU_DEP_1) | instskip(NEXT) | instid1(VALU_DEP_1)
	v_readfirstlane_b32 s8, v1
	s_mul_i32 s9, s9, s8
	s_delay_alu instid0(SALU_CYCLE_1) | instskip(NEXT) | instid1(SALU_CYCLE_1)
	s_mul_hi_u32 s9, s8, s9
	s_add_i32 s11, s8, s9
	s_load_b64 s[8:9], s[0:1], 0xc8
	s_mul_hi_u32 s11, s10, s11
	s_delay_alu instid0(SALU_CYCLE_1) | instskip(NEXT) | instid1(SALU_CYCLE_1)
	s_mul_i32 s11, s11, s2
	s_sub_i32 s10, s10, s11
	s_ashr_i32 s11, s12, 31
	s_sub_i32 s36, s10, s2
	s_cmp_ge_u32 s10, s2
	s_cselect_b32 s10, s36, s10
	s_delay_alu instid0(SALU_CYCLE_1) | instskip(SKIP_2) | instid1(SALU_CYCLE_1)
	s_sub_i32 s36, s10, s2
	s_cmp_ge_u32 s10, s2
	s_cselect_b32 s2, s36, s10
	s_xor_b32 s2, s2, s11
	s_delay_alu instid0(SALU_CYCLE_1)
	s_sub_i32 s2, s2, s11
	s_waitcnt lgkmcnt(0)
	s_mul_i32 s9, s2, s9
	s_mul_hi_u32 s10, s2, s8
	s_ashr_i32 s11, s2, 31
	s_add_i32 s9, s10, s9
	s_mul_i32 s11, s11, s8
	s_mul_i32 s2, s2, s8
	s_add_i32 s9, s9, s11
	s_add_u32 s36, s22, s2
	s_addc_u32 s37, s23, s9
.LBB19_2:
	v_bfe_u32 v5, v0, 10, 10
	s_load_b128 s[8:11], s[0:1], 0x70
	v_and_b32_e32 v13, 0x3ff, v0
	s_delay_alu instid0(VALU_DEP_2) | instskip(SKIP_2) | instid1(VALU_DEP_3)
	v_lshrrev_b32_e32 v1, 2, v5
	v_lshlrev_b32_e32 v7, 2, v5
	v_mul_u32_u24_e32 v16, 0x180, v5
	v_lshl_add_u32 v12, s13, 1, v1
	s_delay_alu instid0(VALU_DEP_3) | instskip(NEXT) | instid1(VALU_DEP_2)
	v_and_b32_e32 v27, 12, v7
	v_mul_hi_u32 v1, s4, v12
	s_waitcnt lgkmcnt(0)
	s_mul_i32 s2, s12, s10
	s_mul_i32 s4, s15, s9
	s_delay_alu instid0(VALU_DEP_1) | instskip(NEXT) | instid1(VALU_DEP_1)
	v_add_nc_u32_e32 v1, v12, v1
	v_lshrrev_b32_e32 v1, s5, v1
	s_ashr_i32 s5, s2, 31
	s_add_u32 s2, s16, s2
	s_addc_u32 s5, s17, s5
	s_ashr_i32 s10, s4, 31
	v_mul_lo_u32 v1, v1, s6
	s_add_u32 s2, s2, s4
	s_addc_u32 s4, s5, s10
	s_ashr_i32 s10, s8, 31
	s_ashr_i32 s5, s9, 31
	v_alignbit_b32 v3, s10, s8, 2
	v_alignbit_b32 v8, s5, s9, 2
	s_lshr_b32 s8, s10, 2
	v_sub_nc_u32_e32 v6, v12, v1
	s_delay_alu instid0(VALU_DEP_1) | instskip(NEXT) | instid1(VALU_DEP_3)
	v_mad_u64_u32 v[1:2], null, v3, v6, 0
	v_mad_u64_u32 v[3:4], null, v8, v27, 0
	s_delay_alu instid0(VALU_DEP_1) | instskip(SKIP_1) | instid1(VALU_DEP_1)
	v_mad_u64_u32 v[8:9], null, s8, v6, v[2:3]
	s_lshr_b32 s8, s5, 2
	v_mov_b32_e32 v2, v8
	s_delay_alu instid0(VALU_DEP_3) | instskip(SKIP_1) | instid1(VALU_DEP_2)
	v_mad_u64_u32 v[8:9], null, s8, v27, v[4:5]
	s_load_b32 s8, s[0:1], 0x40
	v_lshlrev_b64 v[0:1], 2, v[1:2]
	v_lshlrev_b32_e32 v2, 4, v13
	s_delay_alu instid0(VALU_DEP_3) | instskip(NEXT) | instid1(VALU_DEP_3)
	v_mov_b32_e32 v4, v8
	v_add_co_u32 v8, vcc_lo, s2, v0
	s_delay_alu instid0(VALU_DEP_4) | instskip(NEXT) | instid1(VALU_DEP_3)
	v_add_co_ci_u32_e32 v9, vcc_lo, s4, v1, vcc_lo
	v_lshlrev_b64 v[0:1], 2, v[3:4]
	s_delay_alu instid0(VALU_DEP_3) | instskip(NEXT) | instid1(VALU_DEP_3)
	v_add_co_u32 v2, vcc_lo, v8, v2
	v_add_co_ci_u32_e32 v3, vcc_lo, 0, v9, vcc_lo
	v_lshlrev_b32_e32 v4, 1, v13
	s_delay_alu instid0(VALU_DEP_3) | instskip(NEXT) | instid1(VALU_DEP_3)
	v_add_co_u32 v0, vcc_lo, v2, v0
	v_add_co_ci_u32_e32 v1, vcc_lo, v3, v1, vcc_lo
	v_cmp_gt_u32_e32 vcc_lo, 16, v13
	s_mov_b32 s4, s9
	global_load_b128 v[8:11], v[0:1], off
	s_lshr_b64 s[4:5], s[4:5], 2
	s_waitcnt vmcnt(0) lgkmcnt(0)
	v_fma_mixlo_f16 v15, v10, s8, 0
	v_fma_mixlo_f16 v14, v8, s8, 0
	v_add_lshl_u32 v8, v16, v4, 2
	s_delay_alu instid0(VALU_DEP_3) | instskip(NEXT) | instid1(VALU_DEP_3)
	v_fma_mixhi_f16 v15, v11, s8, 0
	v_fma_mixhi_f16 v14, v9, s8, 0
	ds_store_b64 v8, v[14:15]
	s_and_saveexec_b32 s2, vcc_lo
	s_cbranch_execz .LBB19_4
; %bb.3:
	global_load_b128 v[14:17], v[0:1], off offset:512
	s_waitcnt vmcnt(0)
	v_fma_mixlo_f16 v1, v16, s8, 0
	v_fma_mixlo_f16 v0, v14, s8, 0
	s_delay_alu instid0(VALU_DEP_2) | instskip(NEXT) | instid1(VALU_DEP_2)
	v_fma_mixhi_f16 v1, v17, s8, 0
	v_fma_mixhi_f16 v0, v15, s8, 0
	ds_store_b64 v8, v[0:1] offset:256
.LBB19_4:
	s_or_b32 exec_lo, exec_lo, s2
	v_or_b32_e32 v14, 1, v7
	s_delay_alu instid0(VALU_DEP_1) | instskip(SKIP_1) | instid1(VALU_DEP_2)
	v_and_b32_e32 v10, 13, v14
	v_mul_u32_u24_e32 v16, 0x60, v14
	v_mad_u64_u32 v[0:1], null, s4, v10, 0
	s_delay_alu instid0(VALU_DEP_2) | instskip(NEXT) | instid1(VALU_DEP_2)
	v_add_lshl_u32 v4, v16, v4, 2
	v_mad_u64_u32 v[8:9], null, s5, v10, v[1:2]
	s_delay_alu instid0(VALU_DEP_1) | instskip(NEXT) | instid1(VALU_DEP_1)
	v_mov_b32_e32 v1, v8
	v_lshlrev_b64 v[0:1], 2, v[0:1]
	s_delay_alu instid0(VALU_DEP_1) | instskip(NEXT) | instid1(VALU_DEP_1)
	v_add_co_u32 v0, s2, v2, v0
	v_add_co_ci_u32_e64 v1, s2, v3, v1, s2
	global_load_b128 v[8:11], v[0:1], off
	s_waitcnt vmcnt(0)
	v_fma_mixlo_f16 v15, v10, s8, 0
	v_fma_mixlo_f16 v14, v8, s8, 0
	s_delay_alu instid0(VALU_DEP_2) | instskip(NEXT) | instid1(VALU_DEP_2)
	v_fma_mixhi_f16 v15, v11, s8, 0
	v_fma_mixhi_f16 v14, v9, s8, 0
	ds_store_b64 v4, v[14:15]
	s_and_saveexec_b32 s2, vcc_lo
	s_cbranch_execz .LBB19_6
; %bb.5:
	global_load_b128 v[8:11], v[0:1], off offset:512
	s_waitcnt vmcnt(0)
	v_fma_mixlo_f16 v1, v10, s8, 0
	v_fma_mixlo_f16 v0, v8, s8, 0
	s_delay_alu instid0(VALU_DEP_2) | instskip(NEXT) | instid1(VALU_DEP_2)
	v_fma_mixhi_f16 v1, v11, s8, 0
	v_fma_mixhi_f16 v0, v9, s8, 0
	ds_store_b64 v4, v[0:1] offset:256
.LBB19_6:
	s_or_b32 exec_lo, exec_lo, s2
	v_or_b32_e32 v0, 2, v7
	s_delay_alu instid0(VALU_DEP_1) | instskip(NEXT) | instid1(VALU_DEP_1)
	v_and_b32_e32 v10, 14, v0
	v_mad_u64_u32 v[0:1], null, s4, v10, 0
	s_delay_alu instid0(VALU_DEP_1) | instskip(NEXT) | instid1(VALU_DEP_1)
	v_mad_u64_u32 v[8:9], null, s5, v10, v[1:2]
	v_mov_b32_e32 v1, v8
	s_delay_alu instid0(VALU_DEP_1) | instskip(NEXT) | instid1(VALU_DEP_1)
	v_lshlrev_b64 v[0:1], 2, v[0:1]
	v_add_co_u32 v0, s2, v2, v0
	s_delay_alu instid0(VALU_DEP_1) | instskip(SKIP_4) | instid1(VALU_DEP_2)
	v_add_co_ci_u32_e64 v1, s2, v3, v1, s2
	global_load_b128 v[8:11], v[0:1], off
	s_waitcnt vmcnt(0)
	v_fma_mixlo_f16 v15, v10, s8, 0
	v_fma_mixlo_f16 v14, v8, s8, 0
	v_fma_mixhi_f16 v15, v11, s8, 0
	s_delay_alu instid0(VALU_DEP_2)
	v_fma_mixhi_f16 v14, v9, s8, 0
	ds_store_b64 v4, v[14:15] offset:384
	s_and_saveexec_b32 s2, vcc_lo
	s_cbranch_execz .LBB19_8
; %bb.7:
	global_load_b128 v[8:11], v[0:1], off offset:512
	s_waitcnt vmcnt(0)
	v_fma_mixlo_f16 v1, v10, s8, 0
	v_fma_mixlo_f16 v0, v8, s8, 0
	s_delay_alu instid0(VALU_DEP_2) | instskip(NEXT) | instid1(VALU_DEP_2)
	v_fma_mixhi_f16 v1, v11, s8, 0
	v_fma_mixhi_f16 v0, v9, s8, 0
	ds_store_b64 v4, v[0:1] offset:640
.LBB19_8:
	s_or_b32 exec_lo, exec_lo, s2
	v_or_b32_e32 v0, 3, v7
	s_delay_alu instid0(VALU_DEP_1) | instskip(NEXT) | instid1(VALU_DEP_1)
	v_and_b32_e32 v10, 15, v0
	v_mad_u64_u32 v[0:1], null, s4, v10, 0
	s_delay_alu instid0(VALU_DEP_1) | instskip(NEXT) | instid1(VALU_DEP_1)
	v_mad_u64_u32 v[8:9], null, s5, v10, v[1:2]
	v_mov_b32_e32 v1, v8
	s_delay_alu instid0(VALU_DEP_1) | instskip(NEXT) | instid1(VALU_DEP_1)
	v_lshlrev_b64 v[0:1], 2, v[0:1]
	v_add_co_u32 v0, s2, v2, v0
	s_delay_alu instid0(VALU_DEP_1) | instskip(SKIP_4) | instid1(VALU_DEP_2)
	v_add_co_ci_u32_e64 v1, s2, v3, v1, s2
	global_load_b128 v[8:11], v[0:1], off
	s_waitcnt vmcnt(0)
	v_fma_mixlo_f16 v3, v10, s8, 0
	v_fma_mixlo_f16 v2, v8, s8, 0
	v_fma_mixhi_f16 v3, v11, s8, 0
	s_delay_alu instid0(VALU_DEP_2)
	v_fma_mixhi_f16 v2, v9, s8, 0
	ds_store_b64 v4, v[2:3] offset:768
	s_and_saveexec_b32 s2, vcc_lo
	s_cbranch_execz .LBB19_10
; %bb.9:
	global_load_b128 v[0:3], v[0:1], off offset:512
	s_waitcnt vmcnt(0)
	v_fma_mixlo_f16 v9, v2, s8, 0
	v_fma_mixlo_f16 v8, v0, s8, 0
	s_delay_alu instid0(VALU_DEP_2) | instskip(NEXT) | instid1(VALU_DEP_2)
	v_fma_mixhi_f16 v9, v3, s8, 0
	v_fma_mixhi_f16 v8, v1, s8, 0
	ds_store_b64 v4, v[8:9] offset:1024
.LBB19_10:
	s_or_b32 exec_lo, exec_lo, s2
	s_cmp_eq_u64 s[26:27], 0
	s_waitcnt lgkmcnt(0)
	s_barrier
	buffer_gl0_inv
	s_cbranch_scc1 .LBB19_12
; %bb.11:
	s_load_b32 s2, s[0:1], 0xd0
	s_mov_b32 s5, 0
	s_waitcnt lgkmcnt(0)
	s_mul_i32 s2, s2, s12
	s_delay_alu instid0(SALU_CYCLE_1) | instskip(NEXT) | instid1(SALU_CYCLE_1)
	s_add_i32 s4, s2, s13
	s_lshl_b64 s[4:5], s[4:5], 2
	s_delay_alu instid0(SALU_CYCLE_1)
	s_add_u32 s4, s26, s4
	s_addc_u32 s5, s27, s5
	s_load_b32 s34, s[4:5], 0x0
.LBB19_12:
	v_mbcnt_lo_u32_b32 v29, -1, 0
	s_lshl_b32 s4, s14, 6
	s_waitcnt lgkmcnt(0)
	s_cmp_lt_i32 s4, s34
	s_cbranch_scc1 .LBB19_14
; %bb.13:
	v_mbcnt_lo_u32_b32 v8, -1, 0
	v_mov_b32_e32 v30, 32
	s_mov_b32 s2, 0
	s_mov_b32 s5, 0xfeffffff
	s_delay_alu instid0(VALU_DEP_2)
	v_xor_b32_e32 v59, 16, v8
	v_xor_b32_e32 v58, 8, v8
	;; [unrolled: 1-line block ×5, first 2 shown]
	s_branch .LBB19_15
.LBB19_14:
	s_mov_b32 s2, -1
                                        ; implicit-def: $sgpr5
                                        ; implicit-def: $vgpr8
                                        ; implicit-def: $vgpr30
                                        ; implicit-def: $vgpr59
                                        ; implicit-def: $vgpr58
                                        ; implicit-def: $vgpr57
                                        ; implicit-def: $vgpr56
                                        ; implicit-def: $vgpr55
.LBB19_15:
	s_delay_alu instid0(SALU_CYCLE_1) | instskip(SKIP_2) | instid1(VALU_DEP_3)
	v_cndmask_b32_e64 v0, 0, 1, s2
	v_dual_mov_b32 v3, s5 :: v_dual_lshlrev_b32 v28, 2, v13
	v_dual_mov_b32 v4, s2 :: v_dual_mov_b32 v1, s5
	v_cmp_ne_u32_e32 vcc_lo, 1, v0
	v_dual_mov_b32 v46, s2 :: v_dual_mov_b32 v65, s2
	v_dual_mov_b32 v2, s5 :: v_dual_mov_b32 v63, s2
	;; [unrolled: 1-line block ×6, first 2 shown]
	v_mov_b32_e32 v42, s2
	s_cbranch_vccnz .LBB19_52
; %bb.16:
	s_clause 0x1
	s_load_b128 s[8:11], s[0:1], 0x98
	s_load_b64 s[16:17], s[0:1], 0x8c
	v_lshrrev_b32_e32 v0, 3, v13
	v_dual_mov_b32 v41, 0 :: v_dual_and_b32 v8, 28, v28
	s_sub_i32 s2, 0, s33
	s_abs_i32 s13, s15
	s_mul_i32 s2, s2, s38
	v_dual_mov_b32 v43, 0 :: v_dual_add_nc_u32 v0, v0, v7
	v_dual_mov_b32 v24, 0xfeffffff :: v_dual_lshlrev_b32 v1, 2, v8
	s_mul_hi_u32 s2, s38, s2
	s_ashr_i32 s23, s35, 31
	s_add_i32 s38, s38, s2
	s_ashr_i32 s35, s12, 31
	s_mul_hi_u32 s27, s13, s38
	v_mad_u32_u24 v3, 0x90, v0, v1
	v_lshrrev_b32_e32 v1, 4, v13
	s_ashr_i32 s22, s15, 31
	s_waitcnt lgkmcnt(0)
	s_ashr_i32 s5, s10, 2
	s_ashr_i32 s10, s16, 2
	s_mul_i32 s9, s12, s9
	s_mul_hi_u32 s16, s12, s8
	s_mul_i32 s39, s35, s8
	s_add_i32 s9, s16, s9
	s_mul_i32 s8, s12, s8
	s_ashr_i32 s26, s3, 1
	s_load_b64 s[2:3], s[0:1], 0xa8
	s_mul_i32 s38, s27, s33
	s_add_i32 s9, s9, s39
	s_add_u32 s16, s18, s8
	s_load_b32 s8, s[0:1], 0x54
	s_addc_u32 s18, s19, s9
	s_sub_i32 s13, s13, s38
	v_lshl_add_u32 v7, v5, 1, v1
	s_xor_b32 s9, s22, s23
	s_add_i32 s19, s27, 1
	s_sub_i32 s22, s13, s33
	s_cmp_ge_u32 s13, s33
	v_dual_mov_b32 v42, 0 :: v_dual_and_b32 v9, 60, v28
	s_cselect_b32 s19, s19, s27
	s_cselect_b32 s13, s22, s13
	v_mul_lo_u32 v0, s10, v0
	v_mul_lo_u32 v4, s5, v7
	s_add_i32 s22, s19, 1
	s_cmp_ge_u32 s13, s33
	v_dual_mov_b32 v47, 0 :: v_dual_lshlrev_b32 v10, 2, v9
	s_cselect_b32 s13, s22, s19
	v_mad_u64_u32 v[14:15], null, v6, s26, v[13:14]
	s_xor_b32 s13, s13, s9
	v_lshl_add_u32 v2, s10, 5, v0
	s_sub_i32 s19, s13, s9
	v_lshl_or_b32 v7, v7, 8, v10
	v_lshl_add_u32 v6, s5, 4, v4
	s_mul_i32 s9, s19, s17
	s_waitcnt lgkmcnt(0)
	s_mul_i32 s3, s12, s3
	s_mul_hi_u32 s22, s12, s2
	s_ashr_i32 s13, s9, 31
	s_add_u32 s9, s16, s9
	v_dual_mov_b32 v30, 32 :: v_dual_add_nc_u32 v31, 0x3000, v3
	v_ashrrev_i32_e32 v1, 31, v0
	v_dual_mov_b32 v45, 0 :: v_dual_add_nc_u32 v32, 0x4200, v3
	v_ashrrev_i32_e32 v3, 31, v2
	v_mul_u32_u24_e32 v34, 0x600, v5
	v_lshl_add_u32 v35, v5, 9, 0x5400
	v_dual_mov_b32 v44, 0 :: v_dual_add_nc_u32 v37, 0x3000, v7
	v_ashrrev_i32_e32 v5, 31, v4
	v_dual_mov_b32 v49, 0 :: v_dual_add_nc_u32 v38, 0x4000, v7
	v_ashrrev_i32_e32 v7, 31, v6
	s_mul_i32 s35, s35, s2
	s_addc_u32 s13, s18, s13
	s_add_i32 s3, s22, s3
	s_mul_i32 s2, s12, s2
	s_add_i32 s3, s3, s35
	s_mul_i32 s19, s19, s11
	s_add_u32 s2, s20, s2
	s_addc_u32 s3, s21, s3
	s_ashr_i32 s16, s19, 31
	v_lshlrev_b64 v[15:16], 2, v[0:1]
	v_lshlrev_b64 v[17:18], 2, v[2:3]
	v_lshlrev_b64 v[19:20], 2, v[4:5]
	v_lshlrev_b64 v[21:22], 2, v[6:7]
	s_add_u32 s11, s2, s19
	v_mul_u32_u24_e32 v33, 0x90, v13
	v_dual_mov_b32 v25, 0xfeffffff :: v_dual_lshlrev_b32 v36, 3, v13
	v_dual_mov_b32 v48, 0 :: v_dual_lshlrev_b32 v39, 2, v8
	;; [unrolled: 1-line block ×3, first 2 shown]
	v_dual_mov_b32 v46, 0 :: v_dual_mov_b32 v53, 0xfeffffff
	v_dual_mov_b32 v52, 0 :: v_dual_mov_b32 v51, 0
	v_mov_b32_e32 v50, 0
	s_addc_u32 s16, s3, s16
	s_add_u32 s2, s0, 0xd0
	s_addc_u32 s3, s1, 0
	s_mov_b32 s17, 0xbbbac73d
.LBB19_17:                              ; =>This Inner Loop Header: Depth=1
	s_mul_hi_i32 s19, s4, s10
	s_mul_i32 s18, s4, s10
	v_mov_b32_e32 v26, 0
	s_lshl_b64 s[18:19], s[18:19], 2
	v_mov_b32_e32 v54, 0
	s_add_u32 s18, s9, s18
	s_addc_u32 s19, s13, s19
	v_add_co_u32 v0, vcc_lo, s18, v15
	v_add_co_ci_u32_e32 v1, vcc_lo, s19, v16, vcc_lo
	v_add_co_u32 v2, vcc_lo, s18, v17
	v_add_co_ci_u32_e32 v3, vcc_lo, s19, v18, vcc_lo
	s_delay_alu instid0(VALU_DEP_4) | instskip(NEXT) | instid1(VALU_DEP_4)
	v_add_co_u32 v0, vcc_lo, v0, v39
	v_add_co_ci_u32_e32 v1, vcc_lo, 0, v1, vcc_lo
	s_delay_alu instid0(VALU_DEP_4) | instskip(NEXT) | instid1(VALU_DEP_4)
	v_add_co_u32 v2, vcc_lo, v2, v39
	v_add_co_ci_u32_e32 v3, vcc_lo, 0, v3, vcc_lo
	s_clause 0x1
	global_load_b128 v[4:7], v[0:1], off
	global_load_b128 v[8:11], v[2:3], off
	s_waitcnt vmcnt(1)
	ds_store_b128 v31, v[4:7]
	s_waitcnt vmcnt(0)
	ds_store_b128 v32, v[8:11]
	s_waitcnt lgkmcnt(0)
	s_barrier
	buffer_gl0_inv
	ds_load_b128 v[55:58], v33 offset:12288
	ds_load_b128 v[59:62], v34
	ds_load_b128 v[63:66], v34 offset:384
	ds_load_b128 v[67:70], v34 offset:768
	v_dual_mov_b32 v8, 0 :: v_dual_mov_b32 v9, 0
	ds_load_b128 v[71:74], v34 offset:1152
	ds_load_b128 v[75:78], v33 offset:16896
	v_dual_mov_b32 v6, 0 :: v_dual_mov_b32 v7, 0
	v_dual_mov_b32 v4, 0 :: v_dual_mov_b32 v5, 0
	s_waitcnt lgkmcnt(4)
	;;#ASMSTART
	v_dot2_f32_f16 v8, v55, v59, v8
	;;#ASMEND
	;;#ASMSTART
	v_dot2_f32_f16 v8, v56, v60, v8
	;;#ASMEND
	;;#ASMSTART
	v_dot2_f32_f16 v8, v57, v61, v8
	;;#ASMEND
	;;#ASMSTART
	v_dot2_f32_f16 v8, v58, v62, v8
	;;#ASMEND
	s_waitcnt lgkmcnt(3)
	;;#ASMSTART
	v_dot2_f32_f16 v6, v55, v63, v6
	;;#ASMEND
	;;#ASMSTART
	v_dot2_f32_f16 v6, v56, v64, v6
	;;#ASMEND
	;;#ASMSTART
	v_dot2_f32_f16 v6, v57, v65, v6
	;;#ASMEND
	;;#ASMSTART
	v_dot2_f32_f16 v6, v58, v66, v6
	;;#ASMEND
	;; [unrolled: 13-line block ×5, first 2 shown]
	;;#ASMSTART
	v_dot2_f32_f16 v7, v75, v63, v7
	;;#ASMEND
	;;#ASMSTART
	v_dot2_f32_f16 v7, v76, v64, v7
	;;#ASMEND
	;;#ASMSTART
	v_dot2_f32_f16 v7, v77, v65, v7
	;;#ASMEND
	;;#ASMSTART
	v_dot2_f32_f16 v7, v78, v66, v7
	;;#ASMEND
	;;#ASMSTART
	v_dot2_f32_f16 v5, v75, v67, v5
	;;#ASMEND
	;;#ASMSTART
	v_dot2_f32_f16 v5, v76, v68, v5
	;;#ASMEND
	;;#ASMSTART
	v_dot2_f32_f16 v5, v77, v69, v5
	;;#ASMEND
	;;#ASMSTART
	v_dot2_f32_f16 v5, v78, v70, v5
	;;#ASMEND
	;;#ASMSTART
	v_dot2_f32_f16 v54, v75, v71, v54
	;;#ASMEND
	;;#ASMSTART
	v_dot2_f32_f16 v54, v76, v72, v54
	;;#ASMEND
	;;#ASMSTART
	v_dot2_f32_f16 v54, v77, v73, v54
	;;#ASMEND
	;;#ASMSTART
	v_dot2_f32_f16 v54, v78, v74, v54
	;;#ASMEND
	ds_load_b128 v[55:58], v33 offset:12304
	ds_load_b128 v[59:62], v34 offset:16
	ds_load_b128 v[63:66], v34 offset:400
	ds_load_b128 v[67:70], v34 offset:784
	ds_load_b128 v[71:74], v34 offset:1168
	ds_load_b128 v[75:78], v33 offset:16912
	s_waitcnt lgkmcnt(4)
	;;#ASMSTART
	v_dot2_f32_f16 v8, v55, v59, v8
	;;#ASMEND
	;;#ASMSTART
	v_dot2_f32_f16 v8, v56, v60, v8
	;;#ASMEND
	;;#ASMSTART
	v_dot2_f32_f16 v8, v57, v61, v8
	;;#ASMEND
	;;#ASMSTART
	v_dot2_f32_f16 v8, v58, v62, v8
	;;#ASMEND
	s_waitcnt lgkmcnt(3)
	;;#ASMSTART
	v_dot2_f32_f16 v6, v55, v63, v6
	;;#ASMEND
	;;#ASMSTART
	v_dot2_f32_f16 v6, v56, v64, v6
	;;#ASMEND
	;;#ASMSTART
	v_dot2_f32_f16 v6, v57, v65, v6
	;;#ASMEND
	;;#ASMSTART
	v_dot2_f32_f16 v6, v58, v66, v6
	;;#ASMEND
	;; [unrolled: 13-line block ×5, first 2 shown]
	;;#ASMSTART
	v_dot2_f32_f16 v7, v75, v63, v7
	;;#ASMEND
	;;#ASMSTART
	v_dot2_f32_f16 v7, v76, v64, v7
	;;#ASMEND
	;; [unrolled: 3-line block ×12, first 2 shown]
	ds_load_b128 v[55:58], v33 offset:12320
	ds_load_b128 v[59:62], v34 offset:32
	ds_load_b128 v[63:66], v34 offset:416
	ds_load_b128 v[67:70], v34 offset:800
	ds_load_b128 v[71:74], v34 offset:1184
	ds_load_b128 v[75:78], v33 offset:16928
	s_waitcnt lgkmcnt(4)
	;;#ASMSTART
	v_dot2_f32_f16 v8, v55, v59, v8
	;;#ASMEND
	;;#ASMSTART
	v_dot2_f32_f16 v8, v56, v60, v8
	;;#ASMEND
	;;#ASMSTART
	v_dot2_f32_f16 v8, v57, v61, v8
	;;#ASMEND
	;;#ASMSTART
	v_dot2_f32_f16 v8, v58, v62, v8
	;;#ASMEND
	s_waitcnt lgkmcnt(3)
	;;#ASMSTART
	v_dot2_f32_f16 v6, v55, v63, v6
	;;#ASMEND
	;;#ASMSTART
	v_dot2_f32_f16 v6, v56, v64, v6
	;;#ASMEND
	;;#ASMSTART
	v_dot2_f32_f16 v6, v57, v65, v6
	;;#ASMEND
	;;#ASMSTART
	v_dot2_f32_f16 v6, v58, v66, v6
	;;#ASMEND
	;; [unrolled: 13-line block ×5, first 2 shown]
	;;#ASMSTART
	v_dot2_f32_f16 v7, v75, v63, v7
	;;#ASMEND
	;;#ASMSTART
	v_dot2_f32_f16 v7, v76, v64, v7
	;;#ASMEND
	;; [unrolled: 3-line block ×12, first 2 shown]
	ds_load_b128 v[55:58], v33 offset:12336
	ds_load_b128 v[59:62], v34 offset:48
	;; [unrolled: 1-line block ×6, first 2 shown]
	s_waitcnt lgkmcnt(4)
	;;#ASMSTART
	v_dot2_f32_f16 v8, v55, v59, v8
	;;#ASMEND
	;;#ASMSTART
	v_dot2_f32_f16 v8, v56, v60, v8
	;;#ASMEND
	;;#ASMSTART
	v_dot2_f32_f16 v8, v57, v61, v8
	;;#ASMEND
	;;#ASMSTART
	v_dot2_f32_f16 v8, v58, v62, v8
	;;#ASMEND
	s_waitcnt lgkmcnt(3)
	;;#ASMSTART
	v_dot2_f32_f16 v6, v55, v63, v6
	;;#ASMEND
	;;#ASMSTART
	v_dot2_f32_f16 v6, v56, v64, v6
	;;#ASMEND
	;;#ASMSTART
	v_dot2_f32_f16 v6, v57, v65, v6
	;;#ASMEND
	;;#ASMSTART
	v_dot2_f32_f16 v6, v58, v66, v6
	;;#ASMEND
	;; [unrolled: 13-line block ×5, first 2 shown]
	;;#ASMSTART
	v_dot2_f32_f16 v7, v75, v63, v7
	;;#ASMEND
	;;#ASMSTART
	v_dot2_f32_f16 v7, v76, v64, v7
	;;#ASMEND
	;; [unrolled: 3-line block ×12, first 2 shown]
	ds_load_b128 v[55:58], v33 offset:12352
	ds_load_b128 v[59:62], v34 offset:64
	;; [unrolled: 1-line block ×6, first 2 shown]
	s_waitcnt lgkmcnt(4)
	;;#ASMSTART
	v_dot2_f32_f16 v8, v55, v59, v8
	;;#ASMEND
	;;#ASMSTART
	v_dot2_f32_f16 v8, v56, v60, v8
	;;#ASMEND
	;;#ASMSTART
	v_dot2_f32_f16 v8, v57, v61, v8
	;;#ASMEND
	;;#ASMSTART
	v_dot2_f32_f16 v8, v58, v62, v8
	;;#ASMEND
	s_waitcnt lgkmcnt(3)
	;;#ASMSTART
	v_dot2_f32_f16 v6, v55, v63, v6
	;;#ASMEND
	;;#ASMSTART
	v_dot2_f32_f16 v6, v56, v64, v6
	;;#ASMEND
	;;#ASMSTART
	v_dot2_f32_f16 v6, v57, v65, v6
	;;#ASMEND
	;;#ASMSTART
	v_dot2_f32_f16 v6, v58, v66, v6
	;;#ASMEND
	;; [unrolled: 13-line block ×5, first 2 shown]
	;;#ASMSTART
	v_dot2_f32_f16 v7, v75, v63, v7
	;;#ASMEND
	;;#ASMSTART
	v_dot2_f32_f16 v7, v76, v64, v7
	;;#ASMEND
	;;#ASMSTART
	v_dot2_f32_f16 v7, v77, v65, v7
	;;#ASMEND
	;;#ASMSTART
	v_dot2_f32_f16 v7, v78, v66, v7
	;;#ASMEND
	;;#ASMSTART
	v_dot2_f32_f16 v5, v75, v67, v5
	;;#ASMEND
	;;#ASMSTART
	v_dot2_f32_f16 v5, v76, v68, v5
	;;#ASMEND
	;;#ASMSTART
	v_dot2_f32_f16 v5, v77, v69, v5
	;;#ASMEND
	;;#ASMSTART
	v_dot2_f32_f16 v5, v78, v70, v5
	;;#ASMEND
	;;#ASMSTART
	v_dot2_f32_f16 v54, v75, v71, v54
	;;#ASMEND
	;;#ASMSTART
	v_dot2_f32_f16 v54, v76, v72, v54
	;;#ASMEND
	;;#ASMSTART
	v_dot2_f32_f16 v54, v77, v73, v54
	;;#ASMEND
	;;#ASMSTART
	v_dot2_f32_f16 v54, v78, v74, v54
	;;#ASMEND
	ds_load_b128 v[55:58], v33 offset:12368
	ds_load_b128 v[59:62], v34 offset:80
	;; [unrolled: 1-line block ×6, first 2 shown]
	s_waitcnt lgkmcnt(4)
	;;#ASMSTART
	v_dot2_f32_f16 v8, v55, v59, v8
	;;#ASMEND
	;;#ASMSTART
	v_dot2_f32_f16 v8, v56, v60, v8
	;;#ASMEND
	;;#ASMSTART
	v_dot2_f32_f16 v8, v57, v61, v8
	;;#ASMEND
	;;#ASMSTART
	v_dot2_f32_f16 v8, v58, v62, v8
	;;#ASMEND
	s_waitcnt lgkmcnt(3)
	;;#ASMSTART
	v_dot2_f32_f16 v6, v55, v63, v6
	;;#ASMEND
	;;#ASMSTART
	v_dot2_f32_f16 v6, v56, v64, v6
	;;#ASMEND
	;;#ASMSTART
	v_dot2_f32_f16 v6, v57, v65, v6
	;;#ASMEND
	;;#ASMSTART
	v_dot2_f32_f16 v6, v58, v66, v6
	;;#ASMEND
	;; [unrolled: 13-line block ×5, first 2 shown]
	;;#ASMSTART
	v_dot2_f32_f16 v7, v75, v63, v7
	;;#ASMEND
	;;#ASMSTART
	v_dot2_f32_f16 v7, v76, v64, v7
	;;#ASMEND
	;; [unrolled: 3-line block ×12, first 2 shown]
	ds_load_b128 v[55:58], v33 offset:12384
	ds_load_b128 v[59:62], v34 offset:96
	;; [unrolled: 1-line block ×6, first 2 shown]
	s_waitcnt lgkmcnt(4)
	;;#ASMSTART
	v_dot2_f32_f16 v8, v55, v59, v8
	;;#ASMEND
	;;#ASMSTART
	v_dot2_f32_f16 v8, v56, v60, v8
	;;#ASMEND
	;;#ASMSTART
	v_dot2_f32_f16 v8, v57, v61, v8
	;;#ASMEND
	;;#ASMSTART
	v_dot2_f32_f16 v8, v58, v62, v8
	;;#ASMEND
	s_waitcnt lgkmcnt(3)
	;;#ASMSTART
	v_dot2_f32_f16 v6, v55, v63, v6
	;;#ASMEND
	;;#ASMSTART
	v_dot2_f32_f16 v6, v56, v64, v6
	;;#ASMEND
	;;#ASMSTART
	v_dot2_f32_f16 v6, v57, v65, v6
	;;#ASMEND
	;;#ASMSTART
	v_dot2_f32_f16 v6, v58, v66, v6
	;;#ASMEND
	;; [unrolled: 13-line block ×5, first 2 shown]
	;;#ASMSTART
	v_dot2_f32_f16 v7, v75, v63, v7
	;;#ASMEND
	;;#ASMSTART
	v_dot2_f32_f16 v7, v76, v64, v7
	;;#ASMEND
	;; [unrolled: 3-line block ×12, first 2 shown]
	ds_load_b128 v[55:58], v33 offset:12400
	ds_load_b128 v[59:62], v34 offset:112
	;; [unrolled: 1-line block ×6, first 2 shown]
	s_waitcnt lgkmcnt(4)
	;;#ASMSTART
	v_dot2_f32_f16 v8, v55, v59, v8
	;;#ASMEND
	;;#ASMSTART
	v_dot2_f32_f16 v8, v56, v60, v8
	;;#ASMEND
	;;#ASMSTART
	v_dot2_f32_f16 v8, v57, v61, v8
	;;#ASMEND
	;;#ASMSTART
	v_dot2_f32_f16 v8, v58, v62, v8
	;;#ASMEND
	s_waitcnt lgkmcnt(3)
	;;#ASMSTART
	v_dot2_f32_f16 v6, v55, v63, v6
	;;#ASMEND
	;;#ASMSTART
	v_dot2_f32_f16 v6, v56, v64, v6
	;;#ASMEND
	;;#ASMSTART
	v_dot2_f32_f16 v6, v57, v65, v6
	;;#ASMEND
	;;#ASMSTART
	v_dot2_f32_f16 v6, v58, v66, v6
	;;#ASMEND
	;; [unrolled: 13-line block ×5, first 2 shown]
	;;#ASMSTART
	v_dot2_f32_f16 v7, v75, v63, v7
	;;#ASMEND
	;;#ASMSTART
	v_dot2_f32_f16 v7, v76, v64, v7
	;;#ASMEND
	;; [unrolled: 3-line block ×12, first 2 shown]
	s_barrier
	buffer_gl0_inv
	s_clause 0x1
	global_load_b128 v[55:58], v[0:1], off offset:128
	global_load_b128 v[59:62], v[2:3], off offset:128
	s_waitcnt vmcnt(1)
	ds_store_b128 v31, v[55:58]
	s_waitcnt vmcnt(0)
	ds_store_b128 v32, v[59:62]
	s_waitcnt lgkmcnt(0)
	s_barrier
	buffer_gl0_inv
	ds_load_b128 v[55:58], v33 offset:12288
	ds_load_b128 v[59:62], v34 offset:128
	;; [unrolled: 1-line block ×6, first 2 shown]
	s_waitcnt lgkmcnt(4)
	;;#ASMSTART
	v_dot2_f32_f16 v8, v55, v59, v8
	;;#ASMEND
	;;#ASMSTART
	v_dot2_f32_f16 v8, v56, v60, v8
	;;#ASMEND
	;;#ASMSTART
	v_dot2_f32_f16 v8, v57, v61, v8
	;;#ASMEND
	;;#ASMSTART
	v_dot2_f32_f16 v8, v58, v62, v8
	;;#ASMEND
	s_waitcnt lgkmcnt(3)
	;;#ASMSTART
	v_dot2_f32_f16 v6, v55, v63, v6
	;;#ASMEND
	;;#ASMSTART
	v_dot2_f32_f16 v6, v56, v64, v6
	;;#ASMEND
	;;#ASMSTART
	v_dot2_f32_f16 v6, v57, v65, v6
	;;#ASMEND
	;;#ASMSTART
	v_dot2_f32_f16 v6, v58, v66, v6
	;;#ASMEND
	;; [unrolled: 13-line block ×5, first 2 shown]
	;;#ASMSTART
	v_dot2_f32_f16 v7, v75, v63, v7
	;;#ASMEND
	;;#ASMSTART
	v_dot2_f32_f16 v7, v76, v64, v7
	;;#ASMEND
	;; [unrolled: 3-line block ×12, first 2 shown]
	ds_load_b128 v[55:58], v33 offset:12304
	ds_load_b128 v[59:62], v34 offset:144
	ds_load_b128 v[63:66], v34 offset:528
	ds_load_b128 v[67:70], v34 offset:912
	ds_load_b128 v[71:74], v34 offset:1296
	ds_load_b128 v[75:78], v33 offset:16912
	s_waitcnt lgkmcnt(4)
	;;#ASMSTART
	v_dot2_f32_f16 v8, v55, v59, v8
	;;#ASMEND
	;;#ASMSTART
	v_dot2_f32_f16 v8, v56, v60, v8
	;;#ASMEND
	;;#ASMSTART
	v_dot2_f32_f16 v8, v57, v61, v8
	;;#ASMEND
	;;#ASMSTART
	v_dot2_f32_f16 v8, v58, v62, v8
	;;#ASMEND
	s_waitcnt lgkmcnt(3)
	;;#ASMSTART
	v_dot2_f32_f16 v6, v55, v63, v6
	;;#ASMEND
	;;#ASMSTART
	v_dot2_f32_f16 v6, v56, v64, v6
	;;#ASMEND
	;;#ASMSTART
	v_dot2_f32_f16 v6, v57, v65, v6
	;;#ASMEND
	;;#ASMSTART
	v_dot2_f32_f16 v6, v58, v66, v6
	;;#ASMEND
	;; [unrolled: 13-line block ×5, first 2 shown]
	;;#ASMSTART
	v_dot2_f32_f16 v7, v75, v63, v7
	;;#ASMEND
	;;#ASMSTART
	v_dot2_f32_f16 v7, v76, v64, v7
	;;#ASMEND
	;; [unrolled: 3-line block ×12, first 2 shown]
	ds_load_b128 v[55:58], v33 offset:12320
	ds_load_b128 v[59:62], v34 offset:160
	;; [unrolled: 1-line block ×6, first 2 shown]
	s_waitcnt lgkmcnt(4)
	;;#ASMSTART
	v_dot2_f32_f16 v8, v55, v59, v8
	;;#ASMEND
	;;#ASMSTART
	v_dot2_f32_f16 v8, v56, v60, v8
	;;#ASMEND
	;;#ASMSTART
	v_dot2_f32_f16 v8, v57, v61, v8
	;;#ASMEND
	;;#ASMSTART
	v_dot2_f32_f16 v8, v58, v62, v8
	;;#ASMEND
	s_waitcnt lgkmcnt(3)
	;;#ASMSTART
	v_dot2_f32_f16 v6, v55, v63, v6
	;;#ASMEND
	;;#ASMSTART
	v_dot2_f32_f16 v6, v56, v64, v6
	;;#ASMEND
	;;#ASMSTART
	v_dot2_f32_f16 v6, v57, v65, v6
	;;#ASMEND
	;;#ASMSTART
	v_dot2_f32_f16 v6, v58, v66, v6
	;;#ASMEND
	;; [unrolled: 13-line block ×5, first 2 shown]
	;;#ASMSTART
	v_dot2_f32_f16 v7, v75, v63, v7
	;;#ASMEND
	;;#ASMSTART
	v_dot2_f32_f16 v7, v76, v64, v7
	;;#ASMEND
	;; [unrolled: 3-line block ×12, first 2 shown]
	ds_load_b128 v[55:58], v33 offset:12336
	ds_load_b128 v[59:62], v34 offset:176
	;; [unrolled: 1-line block ×6, first 2 shown]
	s_waitcnt lgkmcnt(4)
	;;#ASMSTART
	v_dot2_f32_f16 v8, v55, v59, v8
	;;#ASMEND
	;;#ASMSTART
	v_dot2_f32_f16 v8, v56, v60, v8
	;;#ASMEND
	;;#ASMSTART
	v_dot2_f32_f16 v8, v57, v61, v8
	;;#ASMEND
	;;#ASMSTART
	v_dot2_f32_f16 v8, v58, v62, v8
	;;#ASMEND
	s_waitcnt lgkmcnt(3)
	;;#ASMSTART
	v_dot2_f32_f16 v6, v55, v63, v6
	;;#ASMEND
	;;#ASMSTART
	v_dot2_f32_f16 v6, v56, v64, v6
	;;#ASMEND
	;;#ASMSTART
	v_dot2_f32_f16 v6, v57, v65, v6
	;;#ASMEND
	;;#ASMSTART
	v_dot2_f32_f16 v6, v58, v66, v6
	;;#ASMEND
	;; [unrolled: 13-line block ×5, first 2 shown]
	;;#ASMSTART
	v_dot2_f32_f16 v7, v75, v63, v7
	;;#ASMEND
	;;#ASMSTART
	v_dot2_f32_f16 v7, v76, v64, v7
	;;#ASMEND
	;; [unrolled: 3-line block ×12, first 2 shown]
	ds_load_b128 v[55:58], v33 offset:12352
	ds_load_b128 v[59:62], v34 offset:192
	;; [unrolled: 1-line block ×6, first 2 shown]
	s_waitcnt lgkmcnt(4)
	;;#ASMSTART
	v_dot2_f32_f16 v8, v55, v59, v8
	;;#ASMEND
	;;#ASMSTART
	v_dot2_f32_f16 v8, v56, v60, v8
	;;#ASMEND
	;;#ASMSTART
	v_dot2_f32_f16 v8, v57, v61, v8
	;;#ASMEND
	;;#ASMSTART
	v_dot2_f32_f16 v8, v58, v62, v8
	;;#ASMEND
	s_waitcnt lgkmcnt(3)
	;;#ASMSTART
	v_dot2_f32_f16 v6, v55, v63, v6
	;;#ASMEND
	;;#ASMSTART
	v_dot2_f32_f16 v6, v56, v64, v6
	;;#ASMEND
	;;#ASMSTART
	v_dot2_f32_f16 v6, v57, v65, v6
	;;#ASMEND
	;;#ASMSTART
	v_dot2_f32_f16 v6, v58, v66, v6
	;;#ASMEND
	;; [unrolled: 13-line block ×5, first 2 shown]
	;;#ASMSTART
	v_dot2_f32_f16 v7, v75, v63, v7
	;;#ASMEND
	;;#ASMSTART
	v_dot2_f32_f16 v7, v76, v64, v7
	;;#ASMEND
	;; [unrolled: 3-line block ×12, first 2 shown]
	ds_load_b128 v[55:58], v33 offset:12368
	ds_load_b128 v[59:62], v34 offset:208
	ds_load_b128 v[63:66], v34 offset:592
	ds_load_b128 v[67:70], v34 offset:976
	ds_load_b128 v[71:74], v34 offset:1360
	ds_load_b128 v[75:78], v33 offset:16976
	s_waitcnt lgkmcnt(4)
	;;#ASMSTART
	v_dot2_f32_f16 v8, v55, v59, v8
	;;#ASMEND
	;;#ASMSTART
	v_dot2_f32_f16 v8, v56, v60, v8
	;;#ASMEND
	;;#ASMSTART
	v_dot2_f32_f16 v8, v57, v61, v8
	;;#ASMEND
	;;#ASMSTART
	v_dot2_f32_f16 v8, v58, v62, v8
	;;#ASMEND
	s_waitcnt lgkmcnt(3)
	;;#ASMSTART
	v_dot2_f32_f16 v6, v55, v63, v6
	;;#ASMEND
	;;#ASMSTART
	v_dot2_f32_f16 v6, v56, v64, v6
	;;#ASMEND
	;;#ASMSTART
	v_dot2_f32_f16 v6, v57, v65, v6
	;;#ASMEND
	;;#ASMSTART
	v_dot2_f32_f16 v6, v58, v66, v6
	;;#ASMEND
	;; [unrolled: 13-line block ×5, first 2 shown]
	;;#ASMSTART
	v_dot2_f32_f16 v7, v75, v63, v7
	;;#ASMEND
	;;#ASMSTART
	v_dot2_f32_f16 v7, v76, v64, v7
	;;#ASMEND
	;; [unrolled: 3-line block ×12, first 2 shown]
	ds_load_b128 v[55:58], v33 offset:12384
	ds_load_b128 v[59:62], v34 offset:224
	;; [unrolled: 1-line block ×6, first 2 shown]
	s_waitcnt lgkmcnt(4)
	;;#ASMSTART
	v_dot2_f32_f16 v8, v55, v59, v8
	;;#ASMEND
	;;#ASMSTART
	v_dot2_f32_f16 v8, v56, v60, v8
	;;#ASMEND
	;;#ASMSTART
	v_dot2_f32_f16 v8, v57, v61, v8
	;;#ASMEND
	;;#ASMSTART
	v_dot2_f32_f16 v8, v58, v62, v8
	;;#ASMEND
	s_waitcnt lgkmcnt(3)
	;;#ASMSTART
	v_dot2_f32_f16 v6, v55, v63, v6
	;;#ASMEND
	;;#ASMSTART
	v_dot2_f32_f16 v6, v56, v64, v6
	;;#ASMEND
	;;#ASMSTART
	v_dot2_f32_f16 v6, v57, v65, v6
	;;#ASMEND
	;;#ASMSTART
	v_dot2_f32_f16 v6, v58, v66, v6
	;;#ASMEND
	;; [unrolled: 13-line block ×5, first 2 shown]
	;;#ASMSTART
	v_dot2_f32_f16 v7, v75, v63, v7
	;;#ASMEND
	;;#ASMSTART
	v_dot2_f32_f16 v7, v76, v64, v7
	;;#ASMEND
	;; [unrolled: 3-line block ×12, first 2 shown]
	ds_load_b128 v[55:58], v33 offset:12400
	ds_load_b128 v[59:62], v34 offset:240
	;; [unrolled: 1-line block ×6, first 2 shown]
	s_waitcnt lgkmcnt(4)
	;;#ASMSTART
	v_dot2_f32_f16 v8, v55, v59, v8
	;;#ASMEND
	;;#ASMSTART
	v_dot2_f32_f16 v8, v56, v60, v8
	;;#ASMEND
	;;#ASMSTART
	v_dot2_f32_f16 v8, v57, v61, v8
	;;#ASMEND
	;;#ASMSTART
	v_dot2_f32_f16 v8, v58, v62, v8
	;;#ASMEND
	s_waitcnt lgkmcnt(3)
	;;#ASMSTART
	v_dot2_f32_f16 v6, v55, v63, v6
	;;#ASMEND
	;;#ASMSTART
	v_dot2_f32_f16 v6, v56, v64, v6
	;;#ASMEND
	;;#ASMSTART
	v_dot2_f32_f16 v6, v57, v65, v6
	;;#ASMEND
	;;#ASMSTART
	v_dot2_f32_f16 v6, v58, v66, v6
	;;#ASMEND
	;; [unrolled: 13-line block ×5, first 2 shown]
	;;#ASMSTART
	v_dot2_f32_f16 v7, v75, v63, v7
	;;#ASMEND
	;;#ASMSTART
	v_dot2_f32_f16 v7, v76, v64, v7
	;;#ASMEND
	;;#ASMSTART
	v_dot2_f32_f16 v7, v77, v65, v7
	;;#ASMEND
	;;#ASMSTART
	v_dot2_f32_f16 v7, v78, v66, v7
	;;#ASMEND
	;;#ASMSTART
	v_dot2_f32_f16 v5, v75, v67, v5
	;;#ASMEND
	;;#ASMSTART
	v_dot2_f32_f16 v5, v76, v68, v5
	;;#ASMEND
	;;#ASMSTART
	v_dot2_f32_f16 v5, v77, v69, v5
	;;#ASMEND
	;;#ASMSTART
	v_dot2_f32_f16 v5, v78, v70, v5
	;;#ASMEND
	;;#ASMSTART
	v_dot2_f32_f16 v54, v75, v71, v54
	;;#ASMEND
	;;#ASMSTART
	v_dot2_f32_f16 v54, v76, v72, v54
	;;#ASMEND
	;;#ASMSTART
	v_dot2_f32_f16 v54, v77, v73, v54
	;;#ASMEND
	;;#ASMSTART
	v_dot2_f32_f16 v54, v78, v74, v54
	;;#ASMEND
	s_barrier
	buffer_gl0_inv
	s_clause 0x1
	global_load_b128 v[55:58], v[0:1], off offset:256
	global_load_b128 v[0:3], v[2:3], off offset:256
	s_waitcnt vmcnt(1)
	ds_store_b128 v31, v[55:58]
	s_waitcnt vmcnt(0)
	ds_store_b128 v32, v[0:3]
	s_waitcnt lgkmcnt(0)
	s_barrier
	buffer_gl0_inv
	ds_load_b128 v[0:3], v33 offset:12288
	ds_load_b128 v[55:58], v34 offset:256
	;; [unrolled: 1-line block ×6, first 2 shown]
	s_waitcnt lgkmcnt(4)
	;;#ASMSTART
	v_dot2_f32_f16 v8, v0, v55, v8
	;;#ASMEND
	;;#ASMSTART
	v_dot2_f32_f16 v8, v1, v56, v8
	;;#ASMEND
	;;#ASMSTART
	v_dot2_f32_f16 v8, v2, v57, v8
	;;#ASMEND
	;;#ASMSTART
	v_dot2_f32_f16 v8, v3, v58, v8
	;;#ASMEND
	s_waitcnt lgkmcnt(3)
	;;#ASMSTART
	v_dot2_f32_f16 v6, v0, v59, v6
	;;#ASMEND
	;;#ASMSTART
	v_dot2_f32_f16 v6, v1, v60, v6
	;;#ASMEND
	;;#ASMSTART
	v_dot2_f32_f16 v6, v2, v61, v6
	;;#ASMEND
	;;#ASMSTART
	v_dot2_f32_f16 v6, v3, v62, v6
	;;#ASMEND
	;; [unrolled: 13-line block ×5, first 2 shown]
	;;#ASMSTART
	v_dot2_f32_f16 v7, v71, v59, v7
	;;#ASMEND
	;;#ASMSTART
	v_dot2_f32_f16 v7, v72, v60, v7
	;;#ASMEND
	;; [unrolled: 3-line block ×12, first 2 shown]
	ds_load_b128 v[0:3], v33 offset:12304
	ds_load_b128 v[55:58], v34 offset:272
	;; [unrolled: 1-line block ×6, first 2 shown]
	s_waitcnt lgkmcnt(4)
	;;#ASMSTART
	v_dot2_f32_f16 v8, v0, v55, v8
	;;#ASMEND
	;;#ASMSTART
	v_dot2_f32_f16 v8, v1, v56, v8
	;;#ASMEND
	;;#ASMSTART
	v_dot2_f32_f16 v8, v2, v57, v8
	;;#ASMEND
	;;#ASMSTART
	v_dot2_f32_f16 v8, v3, v58, v8
	;;#ASMEND
	s_waitcnt lgkmcnt(3)
	;;#ASMSTART
	v_dot2_f32_f16 v6, v0, v59, v6
	;;#ASMEND
	;;#ASMSTART
	v_dot2_f32_f16 v6, v1, v60, v6
	;;#ASMEND
	;;#ASMSTART
	v_dot2_f32_f16 v6, v2, v61, v6
	;;#ASMEND
	;;#ASMSTART
	v_dot2_f32_f16 v6, v3, v62, v6
	;;#ASMEND
	;; [unrolled: 13-line block ×5, first 2 shown]
	;;#ASMSTART
	v_dot2_f32_f16 v7, v71, v59, v7
	;;#ASMEND
	;;#ASMSTART
	v_dot2_f32_f16 v7, v72, v60, v7
	;;#ASMEND
	;; [unrolled: 3-line block ×12, first 2 shown]
	ds_load_b128 v[0:3], v33 offset:12320
	ds_load_b128 v[55:58], v34 offset:288
	;; [unrolled: 1-line block ×6, first 2 shown]
	s_waitcnt lgkmcnt(4)
	;;#ASMSTART
	v_dot2_f32_f16 v8, v0, v55, v8
	;;#ASMEND
	;;#ASMSTART
	v_dot2_f32_f16 v8, v1, v56, v8
	;;#ASMEND
	;;#ASMSTART
	v_dot2_f32_f16 v8, v2, v57, v8
	;;#ASMEND
	;;#ASMSTART
	v_dot2_f32_f16 v8, v3, v58, v8
	;;#ASMEND
	s_waitcnt lgkmcnt(3)
	;;#ASMSTART
	v_dot2_f32_f16 v6, v0, v59, v6
	;;#ASMEND
	;;#ASMSTART
	v_dot2_f32_f16 v6, v1, v60, v6
	;;#ASMEND
	;;#ASMSTART
	v_dot2_f32_f16 v6, v2, v61, v6
	;;#ASMEND
	;;#ASMSTART
	v_dot2_f32_f16 v6, v3, v62, v6
	;;#ASMEND
	;; [unrolled: 13-line block ×5, first 2 shown]
	;;#ASMSTART
	v_dot2_f32_f16 v7, v71, v59, v7
	;;#ASMEND
	;;#ASMSTART
	v_dot2_f32_f16 v7, v72, v60, v7
	;;#ASMEND
	;; [unrolled: 3-line block ×12, first 2 shown]
	ds_load_b128 v[0:3], v33 offset:12336
	ds_load_b128 v[55:58], v34 offset:304
	;; [unrolled: 1-line block ×6, first 2 shown]
	s_waitcnt lgkmcnt(4)
	;;#ASMSTART
	v_dot2_f32_f16 v8, v0, v55, v8
	;;#ASMEND
	;;#ASMSTART
	v_dot2_f32_f16 v8, v1, v56, v8
	;;#ASMEND
	;;#ASMSTART
	v_dot2_f32_f16 v8, v2, v57, v8
	;;#ASMEND
	;;#ASMSTART
	v_dot2_f32_f16 v8, v3, v58, v8
	;;#ASMEND
	s_waitcnt lgkmcnt(3)
	;;#ASMSTART
	v_dot2_f32_f16 v6, v0, v59, v6
	;;#ASMEND
	;;#ASMSTART
	v_dot2_f32_f16 v6, v1, v60, v6
	;;#ASMEND
	;;#ASMSTART
	v_dot2_f32_f16 v6, v2, v61, v6
	;;#ASMEND
	;;#ASMSTART
	v_dot2_f32_f16 v6, v3, v62, v6
	;;#ASMEND
	;; [unrolled: 13-line block ×5, first 2 shown]
	;;#ASMSTART
	v_dot2_f32_f16 v7, v71, v59, v7
	;;#ASMEND
	;;#ASMSTART
	v_dot2_f32_f16 v7, v72, v60, v7
	;;#ASMEND
	;; [unrolled: 3-line block ×12, first 2 shown]
	ds_load_b128 v[0:3], v33 offset:12352
	ds_load_b128 v[55:58], v34 offset:320
	;; [unrolled: 1-line block ×6, first 2 shown]
	s_waitcnt lgkmcnt(4)
	;;#ASMSTART
	v_dot2_f32_f16 v8, v0, v55, v8
	;;#ASMEND
	;;#ASMSTART
	v_dot2_f32_f16 v8, v1, v56, v8
	;;#ASMEND
	;;#ASMSTART
	v_dot2_f32_f16 v8, v2, v57, v8
	;;#ASMEND
	;;#ASMSTART
	v_dot2_f32_f16 v8, v3, v58, v8
	;;#ASMEND
	s_waitcnt lgkmcnt(3)
	;;#ASMSTART
	v_dot2_f32_f16 v6, v0, v59, v6
	;;#ASMEND
	;;#ASMSTART
	v_dot2_f32_f16 v6, v1, v60, v6
	;;#ASMEND
	;;#ASMSTART
	v_dot2_f32_f16 v6, v2, v61, v6
	;;#ASMEND
	;;#ASMSTART
	v_dot2_f32_f16 v6, v3, v62, v6
	;;#ASMEND
	;; [unrolled: 13-line block ×5, first 2 shown]
	;;#ASMSTART
	v_dot2_f32_f16 v7, v71, v59, v7
	;;#ASMEND
	;;#ASMSTART
	v_dot2_f32_f16 v7, v72, v60, v7
	;;#ASMEND
	;; [unrolled: 3-line block ×12, first 2 shown]
	ds_load_b128 v[0:3], v33 offset:12368
	ds_load_b128 v[55:58], v34 offset:336
	ds_load_b128 v[59:62], v34 offset:720
	ds_load_b128 v[63:66], v34 offset:1104
	ds_load_b128 v[67:70], v34 offset:1488
	ds_load_b128 v[71:74], v33 offset:16976
	s_waitcnt lgkmcnt(4)
	;;#ASMSTART
	v_dot2_f32_f16 v8, v0, v55, v8
	;;#ASMEND
	;;#ASMSTART
	v_dot2_f32_f16 v8, v1, v56, v8
	;;#ASMEND
	;;#ASMSTART
	v_dot2_f32_f16 v8, v2, v57, v8
	;;#ASMEND
	;;#ASMSTART
	v_dot2_f32_f16 v8, v3, v58, v8
	;;#ASMEND
	s_waitcnt lgkmcnt(3)
	;;#ASMSTART
	v_dot2_f32_f16 v6, v0, v59, v6
	;;#ASMEND
	;;#ASMSTART
	v_dot2_f32_f16 v6, v1, v60, v6
	;;#ASMEND
	;;#ASMSTART
	v_dot2_f32_f16 v6, v2, v61, v6
	;;#ASMEND
	;;#ASMSTART
	v_dot2_f32_f16 v6, v3, v62, v6
	;;#ASMEND
	;; [unrolled: 13-line block ×5, first 2 shown]
	;;#ASMSTART
	v_dot2_f32_f16 v7, v71, v59, v7
	;;#ASMEND
	;;#ASMSTART
	v_dot2_f32_f16 v7, v72, v60, v7
	;;#ASMEND
	;; [unrolled: 3-line block ×12, first 2 shown]
	ds_load_b128 v[0:3], v33 offset:12384
	ds_load_b128 v[55:58], v34 offset:352
	;; [unrolled: 1-line block ×6, first 2 shown]
	s_waitcnt lgkmcnt(4)
	;;#ASMSTART
	v_dot2_f32_f16 v8, v0, v55, v8
	;;#ASMEND
	;;#ASMSTART
	v_dot2_f32_f16 v8, v1, v56, v8
	;;#ASMEND
	;;#ASMSTART
	v_dot2_f32_f16 v8, v2, v57, v8
	;;#ASMEND
	;;#ASMSTART
	v_dot2_f32_f16 v8, v3, v58, v8
	;;#ASMEND
	s_waitcnt lgkmcnt(3)
	;;#ASMSTART
	v_dot2_f32_f16 v6, v0, v59, v6
	;;#ASMEND
	;;#ASMSTART
	v_dot2_f32_f16 v6, v1, v60, v6
	;;#ASMEND
	;;#ASMSTART
	v_dot2_f32_f16 v6, v2, v61, v6
	;;#ASMEND
	;;#ASMSTART
	v_dot2_f32_f16 v6, v3, v62, v6
	;;#ASMEND
	s_waitcnt lgkmcnt(2)
	;;#ASMSTART
	v_dot2_f32_f16 v4, v0, v63, v4
	;;#ASMEND
	;;#ASMSTART
	v_dot2_f32_f16 v4, v1, v64, v4
	;;#ASMEND
	;;#ASMSTART
	v_dot2_f32_f16 v4, v2, v65, v4
	;;#ASMEND
	;;#ASMSTART
	v_dot2_f32_f16 v4, v3, v66, v4
	;;#ASMEND
	s_waitcnt lgkmcnt(1)
	;;#ASMSTART
	v_dot2_f32_f16 v26, v0, v67, v26
	;;#ASMEND
	;;#ASMSTART
	v_dot2_f32_f16 v26, v1, v68, v26
	;;#ASMEND
	;;#ASMSTART
	v_dot2_f32_f16 v26, v2, v69, v26
	;;#ASMEND
	;;#ASMSTART
	v_dot2_f32_f16 v26, v3, v70, v26
	;;#ASMEND
	s_waitcnt lgkmcnt(0)
	;;#ASMSTART
	v_dot2_f32_f16 v9, v71, v55, v9
	;;#ASMEND
	;;#ASMSTART
	v_dot2_f32_f16 v9, v72, v56, v9
	;;#ASMEND
	;;#ASMSTART
	v_dot2_f32_f16 v9, v73, v57, v9
	;;#ASMEND
	;;#ASMSTART
	v_dot2_f32_f16 v9, v74, v58, v9
	;;#ASMEND
	;;#ASMSTART
	v_dot2_f32_f16 v7, v71, v59, v7
	;;#ASMEND
	;;#ASMSTART
	v_dot2_f32_f16 v7, v72, v60, v7
	;;#ASMEND
	;; [unrolled: 3-line block ×12, first 2 shown]
	ds_load_b128 v[0:3], v33 offset:12400
	ds_load_b128 v[55:58], v34 offset:368
	;; [unrolled: 1-line block ×6, first 2 shown]
	s_waitcnt lgkmcnt(4)
	;;#ASMSTART
	v_dot2_f32_f16 v8, v0, v55, v8
	;;#ASMEND
	;;#ASMSTART
	v_dot2_f32_f16 v8, v1, v56, v8
	;;#ASMEND
	;;#ASMSTART
	v_dot2_f32_f16 v8, v2, v57, v8
	;;#ASMEND
	;;#ASMSTART
	v_dot2_f32_f16 v8, v3, v58, v8
	;;#ASMEND
	s_waitcnt lgkmcnt(3)
	;;#ASMSTART
	v_dot2_f32_f16 v6, v0, v59, v6
	;;#ASMEND
	;;#ASMSTART
	v_dot2_f32_f16 v6, v1, v60, v6
	;;#ASMEND
	;;#ASMSTART
	v_dot2_f32_f16 v6, v2, v61, v6
	;;#ASMEND
	;;#ASMSTART
	v_dot2_f32_f16 v6, v3, v62, v6
	;;#ASMEND
	;; [unrolled: 13-line block ×5, first 2 shown]
	;;#ASMSTART
	v_dot2_f32_f16 v7, v71, v59, v7
	;;#ASMEND
	;;#ASMSTART
	v_dot2_f32_f16 v7, v72, v60, v7
	;;#ASMEND
	;; [unrolled: 3-line block ×5, first 2 shown]
	v_cmp_ngt_f32_e64 s18, 0x3f200000, |v8|
	;;#ASMSTART
	v_dot2_f32_f16 v5, v72, v64, v5
	;;#ASMEND
	;;#ASMSTART
	v_dot2_f32_f16 v5, v73, v65, v5
	;;#ASMEND
	;;#ASMSTART
	v_dot2_f32_f16 v5, v74, v66, v5
	;;#ASMEND
	;;#ASMSTART
	v_dot2_f32_f16 v54, v71, v67, v54
	;;#ASMEND
	;;#ASMSTART
	v_dot2_f32_f16 v54, v72, v68, v54
	;;#ASMEND
	;;#ASMSTART
	v_dot2_f32_f16 v54, v73, v69, v54
	;;#ASMEND
	;;#ASMSTART
	v_dot2_f32_f16 v54, v74, v70, v54
	;;#ASMEND
                                        ; implicit-def: $vgpr3
	s_and_saveexec_b32 s19, s18
	s_delay_alu instid0(SALU_CYCLE_1)
	s_xor_b32 s18, exec_lo, s19
	s_cbranch_execz .LBB19_19
; %bb.18:                               ;   in Loop: Header=BB19_17 Depth=1
	v_add_f32_e64 v0, |v8|, |v8|
	s_delay_alu instid0(VALU_DEP_1) | instskip(SKIP_1) | instid1(VALU_DEP_2)
	v_mul_f32_e32 v1, 0x3fb8aa3b, v0
	v_cmp_ngt_f32_e32 vcc_lo, 0xc2ce8ed0, v0
	v_rndne_f32_e32 v2, v1
	v_fma_f32 v3, 0x3fb8aa3b, v0, -v1
	s_delay_alu instid0(VALU_DEP_2) | instskip(NEXT) | instid1(VALU_DEP_2)
	v_sub_f32_e32 v1, v1, v2
	v_fmac_f32_e32 v3, 0x32a5705f, v0
	v_cvt_i32_f32_e32 v2, v2
	s_delay_alu instid0(VALU_DEP_2) | instskip(NEXT) | instid1(VALU_DEP_1)
	v_add_f32_e32 v1, v1, v3
	v_exp_f32_e32 v1, v1
	s_waitcnt_depctr 0xfff
	v_ldexp_f32 v1, v1, v2
	s_delay_alu instid0(VALU_DEP_1) | instskip(SKIP_1) | instid1(VALU_DEP_2)
	v_cndmask_b32_e32 v1, 0, v1, vcc_lo
	v_cmp_nlt_f32_e32 vcc_lo, 0x42b17218, v0
	v_cndmask_b32_e32 v0, 0x7f800000, v1, vcc_lo
	s_delay_alu instid0(VALU_DEP_1) | instskip(NEXT) | instid1(VALU_DEP_1)
	v_add_f32_e32 v0, 1.0, v0
	v_rcp_f32_e32 v0, v0
	s_waitcnt_depctr 0xfff
	v_fma_f32 v3, v0, -2.0, 1.0
.LBB19_19:                              ;   in Loop: Header=BB19_17 Depth=1
	s_and_not1_saveexec_b32 s18, s18
; %bb.20:                               ;   in Loop: Header=BB19_17 Depth=1
	v_mul_f32_e32 v0, v8, v8
	s_delay_alu instid0(VALU_DEP_1) | instskip(NEXT) | instid1(VALU_DEP_1)
	v_fmaak_f32 v1, s17, v0, 0x3ca908c9
	v_fmaak_f32 v1, v0, v1, 0xbd5c1c4e
	s_delay_alu instid0(VALU_DEP_1) | instskip(NEXT) | instid1(VALU_DEP_1)
	v_fmaak_f32 v1, v0, v1, 0x3e088382
	v_fmaak_f32 v1, v0, v1, 0xbeaaaa99
	s_delay_alu instid0(VALU_DEP_1) | instskip(NEXT) | instid1(VALU_DEP_1)
	v_mul_f32_e64 v1, |v8|, v1
	v_fma_f32 v3, v0, v1, |v8|
; %bb.21:                               ;   in Loop: Header=BB19_17 Depth=1
	s_or_b32 exec_lo, exec_lo, s18
	v_add_nc_u32_e32 v0, s4, v14
	v_cmp_ngt_f32_e64 s18, 0x3f200000, |v9|
                                        ; implicit-def: $vgpr11
	s_delay_alu instid0(VALU_DEP_2) | instskip(NEXT) | instid1(VALU_DEP_1)
	v_ashrrev_i32_e32 v1, 31, v0
	v_lshlrev_b64 v[0:1], 1, v[0:1]
	s_delay_alu instid0(VALU_DEP_1) | instskip(NEXT) | instid1(VALU_DEP_2)
	v_add_co_u32 v0, vcc_lo, s36, v0
	v_add_co_ci_u32_e32 v1, vcc_lo, s37, v1, vcc_lo
	flat_load_u16 v2, v[0:1]
	s_and_saveexec_b32 s19, s18
	s_delay_alu instid0(SALU_CYCLE_1)
	s_xor_b32 s18, exec_lo, s19
	s_cbranch_execz .LBB19_23
; %bb.22:                               ;   in Loop: Header=BB19_17 Depth=1
	v_add_f32_e64 v10, |v9|, |v9|
	s_delay_alu instid0(VALU_DEP_1) | instskip(SKIP_1) | instid1(VALU_DEP_2)
	v_mul_f32_e32 v11, 0x3fb8aa3b, v10
	v_cmp_ngt_f32_e32 vcc_lo, 0xc2ce8ed0, v10
	v_rndne_f32_e32 v55, v11
	v_fma_f32 v56, 0x3fb8aa3b, v10, -v11
	s_delay_alu instid0(VALU_DEP_1) | instskip(SKIP_1) | instid1(VALU_DEP_2)
	v_dual_sub_f32 v11, v11, v55 :: v_dual_fmac_f32 v56, 0x32a5705f, v10
	v_cvt_i32_f32_e32 v55, v55
	v_add_f32_e32 v11, v11, v56
	s_delay_alu instid0(VALU_DEP_1) | instskip(SKIP_2) | instid1(VALU_DEP_1)
	v_exp_f32_e32 v11, v11
	s_waitcnt_depctr 0xfff
	v_ldexp_f32 v11, v11, v55
	v_cndmask_b32_e32 v11, 0, v11, vcc_lo
	v_cmp_nlt_f32_e32 vcc_lo, 0x42b17218, v10
	s_delay_alu instid0(VALU_DEP_2) | instskip(NEXT) | instid1(VALU_DEP_1)
	v_cndmask_b32_e32 v10, 0x7f800000, v11, vcc_lo
	v_add_f32_e32 v10, 1.0, v10
	s_delay_alu instid0(VALU_DEP_1)
	v_rcp_f32_e32 v10, v10
	s_waitcnt_depctr 0xfff
	v_fma_f32 v11, v10, -2.0, 1.0
.LBB19_23:                              ;   in Loop: Header=BB19_17 Depth=1
	s_and_not1_saveexec_b32 s18, s18
; %bb.24:                               ;   in Loop: Header=BB19_17 Depth=1
	v_mul_f32_e32 v10, v9, v9
	s_delay_alu instid0(VALU_DEP_1) | instskip(NEXT) | instid1(VALU_DEP_1)
	v_fmaak_f32 v11, s17, v10, 0x3ca908c9
	v_fmaak_f32 v11, v10, v11, 0xbd5c1c4e
	s_delay_alu instid0(VALU_DEP_1) | instskip(NEXT) | instid1(VALU_DEP_1)
	v_fmaak_f32 v11, v10, v11, 0x3e088382
	v_fmaak_f32 v11, v10, v11, 0xbeaaaa99
	s_delay_alu instid0(VALU_DEP_1) | instskip(NEXT) | instid1(VALU_DEP_1)
	v_mul_f32_e64 v11, |v9|, v11
	v_fma_f32 v11, v10, v11, |v9|
; %bb.25:                               ;   in Loop: Header=BB19_17 Depth=1
	s_or_b32 exec_lo, exec_lo, s18
	flat_load_u16 v10, v[0:1] offset:64
	v_bfi_b32 v0, 0x7fffffff, v3, v8
	v_bfi_b32 v1, 0x7fffffff, v11, v9
	v_xor_b32_e32 v59, 16, v29
	v_xor_b32_e32 v58, 8, v29
	;; [unrolled: 1-line block ×3, first 2 shown]
	s_waitcnt vmcnt(1) lgkmcnt(1)
	v_fma_mix_f32 v69, v0, s8, v2 op_sel_hi:[0,0,1]
	v_xor_b32_e32 v56, 2, v29
	v_cmp_gt_i32_e32 vcc_lo, 32, v59
	v_xor_b32_e32 v55, 1, v29
	v_cmp_ngt_f32_e64 s18, 0x3f200000, |v6|
	v_add_f32_e32 v0, 0x40051340, v69
                                        ; implicit-def: $vgpr8
	s_waitcnt vmcnt(0) lgkmcnt(0)
	v_fma_mix_f32 v70, v1, s8, v10 op_sel_hi:[0,0,1]
	v_cndmask_b32_e32 v1, v29, v59, vcc_lo
	v_cmp_gt_i32_e32 vcc_lo, 32, v58
	s_delay_alu instid0(VALU_DEP_2) | instskip(NEXT) | instid1(VALU_DEP_1)
	v_dual_add_f32 v3, 0x40051340, v70 :: v_dual_lshlrev_b32 v68, 2, v1
	v_max3_f32 v0, v24, v0, v3
	ds_bpermute_b32 v1, v68, v0
	s_waitcnt lgkmcnt(0)
	v_max_f32_e32 v1, v1, v1
	v_cndmask_b32_e32 v3, v29, v58, vcc_lo
	v_cmp_gt_i32_e32 vcc_lo, 32, v57
	s_delay_alu instid0(VALU_DEP_2)
	v_dual_max_f32 v0, v0, v1 :: v_dual_lshlrev_b32 v67, 2, v3
	v_cndmask_b32_e32 v3, v29, v57, vcc_lo
	v_cmp_gt_i32_e32 vcc_lo, 32, v56
	ds_bpermute_b32 v1, v67, v0
	s_waitcnt lgkmcnt(0)
	v_dual_max_f32 v1, v1, v1 :: v_dual_lshlrev_b32 v66, 2, v3
	s_delay_alu instid0(VALU_DEP_1)
	v_max_f32_e32 v0, v0, v1
	ds_bpermute_b32 v1, v66, v0
	s_waitcnt lgkmcnt(0)
	v_max_f32_e32 v1, v1, v1
	v_cndmask_b32_e32 v3, v29, v56, vcc_lo
	v_cmp_gt_i32_e32 vcc_lo, 32, v55
	s_delay_alu instid0(VALU_DEP_2)
	v_dual_max_f32 v0, v0, v1 :: v_dual_lshlrev_b32 v63, 2, v3
	v_cndmask_b32_e32 v3, v29, v55, vcc_lo
	ds_bpermute_b32 v1, v63, v0
	v_lshlrev_b32_e32 v3, 2, v3
	s_waitcnt lgkmcnt(0)
	v_max_f32_e32 v1, v1, v1
	s_delay_alu instid0(VALU_DEP_1) | instskip(SKIP_2) | instid1(SALU_CYCLE_1)
	v_max_f32_e32 v0, v0, v1
	ds_bpermute_b32 v1, v3, v0
	s_and_saveexec_b32 s19, s18
	s_xor_b32 s18, exec_lo, s19
	s_cbranch_execz .LBB19_27
; %bb.26:                               ;   in Loop: Header=BB19_17 Depth=1
	v_add_f32_e64 v8, |v6|, |v6|
	s_delay_alu instid0(VALU_DEP_1) | instskip(SKIP_1) | instid1(VALU_DEP_2)
	v_mul_f32_e32 v9, 0x3fb8aa3b, v8
	v_cmp_ngt_f32_e32 vcc_lo, 0xc2ce8ed0, v8
	v_rndne_f32_e32 v11, v9
	v_fma_f32 v60, 0x3fb8aa3b, v8, -v9
	s_delay_alu instid0(VALU_DEP_1) | instskip(SKIP_1) | instid1(VALU_DEP_2)
	v_dual_sub_f32 v9, v9, v11 :: v_dual_fmac_f32 v60, 0x32a5705f, v8
	v_cvt_i32_f32_e32 v11, v11
	v_add_f32_e32 v9, v9, v60
	s_delay_alu instid0(VALU_DEP_1) | instskip(SKIP_2) | instid1(VALU_DEP_1)
	v_exp_f32_e32 v9, v9
	s_waitcnt_depctr 0xfff
	v_ldexp_f32 v9, v9, v11
	v_cndmask_b32_e32 v9, 0, v9, vcc_lo
	v_cmp_nlt_f32_e32 vcc_lo, 0x42b17218, v8
	s_delay_alu instid0(VALU_DEP_2) | instskip(NEXT) | instid1(VALU_DEP_1)
	v_cndmask_b32_e32 v8, 0x7f800000, v9, vcc_lo
	v_add_f32_e32 v8, 1.0, v8
	s_delay_alu instid0(VALU_DEP_1)
	v_rcp_f32_e32 v8, v8
	s_waitcnt_depctr 0xfff
	v_fma_f32 v8, v8, -2.0, 1.0
.LBB19_27:                              ;   in Loop: Header=BB19_17 Depth=1
	s_and_not1_saveexec_b32 s18, s18
; %bb.28:                               ;   in Loop: Header=BB19_17 Depth=1
	v_mul_f32_e32 v8, v6, v6
	s_delay_alu instid0(VALU_DEP_1) | instskip(NEXT) | instid1(VALU_DEP_1)
	v_fmaak_f32 v9, s17, v8, 0x3ca908c9
	v_fmaak_f32 v9, v8, v9, 0xbd5c1c4e
	s_delay_alu instid0(VALU_DEP_1) | instskip(NEXT) | instid1(VALU_DEP_1)
	v_fmaak_f32 v9, v8, v9, 0x3e088382
	v_fmaak_f32 v9, v8, v9, 0xbeaaaa99
	s_delay_alu instid0(VALU_DEP_1) | instskip(NEXT) | instid1(VALU_DEP_1)
	v_mul_f32_e64 v9, |v6|, v9
	v_fma_f32 v8, v8, v9, |v6|
; %bb.29:                               ;   in Loop: Header=BB19_17 Depth=1
	s_or_b32 exec_lo, exec_lo, s18
	v_cmp_ngt_f32_e64 s18, 0x3f200000, |v7|
                                        ; implicit-def: $vgpr9
	s_delay_alu instid0(VALU_DEP_1) | instskip(NEXT) | instid1(SALU_CYCLE_1)
	s_and_saveexec_b32 s19, s18
	s_xor_b32 s18, exec_lo, s19
	s_cbranch_execz .LBB19_31
; %bb.30:                               ;   in Loop: Header=BB19_17 Depth=1
	v_add_f32_e64 v9, |v7|, |v7|
	s_delay_alu instid0(VALU_DEP_1) | instskip(SKIP_1) | instid1(VALU_DEP_2)
	v_mul_f32_e32 v11, 0x3fb8aa3b, v9
	v_cmp_ngt_f32_e32 vcc_lo, 0xc2ce8ed0, v9
	v_rndne_f32_e32 v60, v11
	v_fma_f32 v61, 0x3fb8aa3b, v9, -v11
	s_delay_alu instid0(VALU_DEP_2) | instskip(NEXT) | instid1(VALU_DEP_2)
	v_sub_f32_e32 v11, v11, v60
	v_fmac_f32_e32 v61, 0x32a5705f, v9
	v_cvt_i32_f32_e32 v60, v60
	s_delay_alu instid0(VALU_DEP_2) | instskip(NEXT) | instid1(VALU_DEP_1)
	v_add_f32_e32 v11, v11, v61
	v_exp_f32_e32 v11, v11
	s_waitcnt_depctr 0xfff
	v_ldexp_f32 v11, v11, v60
	s_delay_alu instid0(VALU_DEP_1) | instskip(SKIP_1) | instid1(VALU_DEP_2)
	v_cndmask_b32_e32 v11, 0, v11, vcc_lo
	v_cmp_nlt_f32_e32 vcc_lo, 0x42b17218, v9
	v_cndmask_b32_e32 v9, 0x7f800000, v11, vcc_lo
	s_delay_alu instid0(VALU_DEP_1) | instskip(NEXT) | instid1(VALU_DEP_1)
	v_add_f32_e32 v9, 1.0, v9
	v_rcp_f32_e32 v9, v9
	s_waitcnt_depctr 0xfff
	v_fma_f32 v9, v9, -2.0, 1.0
.LBB19_31:                              ;   in Loop: Header=BB19_17 Depth=1
	s_and_not1_saveexec_b32 s18, s18
; %bb.32:                               ;   in Loop: Header=BB19_17 Depth=1
	v_mul_f32_e32 v9, v7, v7
	s_delay_alu instid0(VALU_DEP_1) | instskip(NEXT) | instid1(VALU_DEP_1)
	v_fmaak_f32 v11, s17, v9, 0x3ca908c9
	v_fmaak_f32 v11, v9, v11, 0xbd5c1c4e
	s_delay_alu instid0(VALU_DEP_1) | instskip(NEXT) | instid1(VALU_DEP_1)
	v_fmaak_f32 v11, v9, v11, 0x3e088382
	v_fmaak_f32 v11, v9, v11, 0xbeaaaa99
	s_delay_alu instid0(VALU_DEP_1) | instskip(NEXT) | instid1(VALU_DEP_1)
	v_mul_f32_e64 v11, |v7|, v11
	v_fma_f32 v9, v9, v11, |v7|
; %bb.33:                               ;   in Loop: Header=BB19_17 Depth=1
	s_or_b32 exec_lo, exec_lo, s18
	v_cvt_f32_f16_e32 v65, v2
	v_cvt_f32_f16_e32 v64, v10
	v_bfi_b32 v2, 0x7fffffff, v8, v6
	v_bfi_b32 v6, 0x7fffffff, v9, v7
	v_cmp_ngt_f32_e64 s18, 0x3f200000, |v4|
	s_delay_alu instid0(VALU_DEP_3) | instskip(NEXT) | instid1(VALU_DEP_3)
	v_fma_f32 v73, s8, v2, v65
	v_fma_f32 v72, s8, v6, v64
	s_delay_alu instid0(VALU_DEP_2) | instskip(NEXT) | instid1(VALU_DEP_2)
	v_add_f32_e32 v2, 0x40051340, v73
	v_add_f32_e32 v6, 0x40051340, v72
	s_delay_alu instid0(VALU_DEP_1) | instskip(SKIP_3) | instid1(VALU_DEP_1)
	v_max3_f32 v2, v25, v2, v6
	ds_bpermute_b32 v6, v68, v2
	s_waitcnt lgkmcnt(0)
	v_max_f32_e32 v6, v6, v6
	v_max_f32_e32 v2, v2, v6
	ds_bpermute_b32 v6, v67, v2
	s_waitcnt lgkmcnt(0)
	v_max_f32_e32 v6, v6, v6
	s_delay_alu instid0(VALU_DEP_1) | instskip(SKIP_3) | instid1(VALU_DEP_1)
	v_max_f32_e32 v2, v2, v6
	ds_bpermute_b32 v6, v66, v2
	s_waitcnt lgkmcnt(0)
	v_max_f32_e32 v6, v6, v6
	v_max_f32_e32 v2, v2, v6
	ds_bpermute_b32 v6, v63, v2
	s_waitcnt lgkmcnt(0)
	v_max_f32_e32 v6, v6, v6
	s_delay_alu instid0(VALU_DEP_1) | instskip(SKIP_2) | instid1(SALU_CYCLE_1)
	v_max_f32_e32 v2, v2, v6
                                        ; implicit-def: $vgpr6
	ds_bpermute_b32 v60, v3, v2
	s_and_saveexec_b32 s19, s18
	s_xor_b32 s18, exec_lo, s19
	s_cbranch_execz .LBB19_35
; %bb.34:                               ;   in Loop: Header=BB19_17 Depth=1
	v_add_f32_e64 v6, |v4|, |v4|
	s_delay_alu instid0(VALU_DEP_1) | instskip(SKIP_1) | instid1(VALU_DEP_2)
	v_mul_f32_e32 v7, 0x3fb8aa3b, v6
	v_cmp_ngt_f32_e32 vcc_lo, 0xc2ce8ed0, v6
	v_rndne_f32_e32 v8, v7
	v_fma_f32 v9, 0x3fb8aa3b, v6, -v7
	s_delay_alu instid0(VALU_DEP_2) | instskip(NEXT) | instid1(VALU_DEP_2)
	v_sub_f32_e32 v7, v7, v8
	v_fmac_f32_e32 v9, 0x32a5705f, v6
	v_cvt_i32_f32_e32 v8, v8
	s_delay_alu instid0(VALU_DEP_2) | instskip(NEXT) | instid1(VALU_DEP_1)
	v_add_f32_e32 v7, v7, v9
	v_exp_f32_e32 v7, v7
	s_waitcnt_depctr 0xfff
	v_ldexp_f32 v7, v7, v8
	s_delay_alu instid0(VALU_DEP_1) | instskip(SKIP_1) | instid1(VALU_DEP_2)
	v_cndmask_b32_e32 v7, 0, v7, vcc_lo
	v_cmp_nlt_f32_e32 vcc_lo, 0x42b17218, v6
	v_cndmask_b32_e32 v6, 0x7f800000, v7, vcc_lo
	s_delay_alu instid0(VALU_DEP_1) | instskip(NEXT) | instid1(VALU_DEP_1)
	v_add_f32_e32 v6, 1.0, v6
	v_rcp_f32_e32 v6, v6
	s_waitcnt_depctr 0xfff
	v_fma_f32 v6, v6, -2.0, 1.0
.LBB19_35:                              ;   in Loop: Header=BB19_17 Depth=1
	s_and_not1_saveexec_b32 s18, s18
; %bb.36:                               ;   in Loop: Header=BB19_17 Depth=1
	v_mul_f32_e32 v6, v4, v4
	s_delay_alu instid0(VALU_DEP_1) | instskip(NEXT) | instid1(VALU_DEP_1)
	v_fmaak_f32 v7, s17, v6, 0x3ca908c9
	v_fmaak_f32 v7, v6, v7, 0xbd5c1c4e
	s_delay_alu instid0(VALU_DEP_1) | instskip(NEXT) | instid1(VALU_DEP_1)
	v_fmaak_f32 v7, v6, v7, 0x3e088382
	v_fmaak_f32 v7, v6, v7, 0xbeaaaa99
	s_delay_alu instid0(VALU_DEP_1) | instskip(NEXT) | instid1(VALU_DEP_1)
	v_mul_f32_e64 v7, |v4|, v7
	v_fma_f32 v6, v6, v7, |v4|
; %bb.37:                               ;   in Loop: Header=BB19_17 Depth=1
	s_or_b32 exec_lo, exec_lo, s18
	v_cmp_ngt_f32_e64 s18, 0x3f200000, |v5|
                                        ; implicit-def: $vgpr7
	s_delay_alu instid0(VALU_DEP_1) | instskip(NEXT) | instid1(SALU_CYCLE_1)
	s_and_saveexec_b32 s19, s18
	s_xor_b32 s18, exec_lo, s19
	s_cbranch_execz .LBB19_39
; %bb.38:                               ;   in Loop: Header=BB19_17 Depth=1
	v_add_f32_e64 v7, |v5|, |v5|
	s_delay_alu instid0(VALU_DEP_1) | instskip(SKIP_1) | instid1(VALU_DEP_2)
	v_mul_f32_e32 v8, 0x3fb8aa3b, v7
	v_cmp_ngt_f32_e32 vcc_lo, 0xc2ce8ed0, v7
	v_rndne_f32_e32 v9, v8
	v_fma_f32 v10, 0x3fb8aa3b, v7, -v8
	s_delay_alu instid0(VALU_DEP_2) | instskip(NEXT) | instid1(VALU_DEP_2)
	v_sub_f32_e32 v8, v8, v9
	v_fmac_f32_e32 v10, 0x32a5705f, v7
	v_cvt_i32_f32_e32 v9, v9
	s_delay_alu instid0(VALU_DEP_2) | instskip(NEXT) | instid1(VALU_DEP_1)
	v_add_f32_e32 v8, v8, v10
	v_exp_f32_e32 v8, v8
	s_waitcnt_depctr 0xfff
	v_ldexp_f32 v8, v8, v9
	s_delay_alu instid0(VALU_DEP_1) | instskip(SKIP_1) | instid1(VALU_DEP_2)
	v_cndmask_b32_e32 v8, 0, v8, vcc_lo
	v_cmp_nlt_f32_e32 vcc_lo, 0x42b17218, v7
	v_cndmask_b32_e32 v7, 0x7f800000, v8, vcc_lo
	s_delay_alu instid0(VALU_DEP_1) | instskip(NEXT) | instid1(VALU_DEP_1)
	v_add_f32_e32 v7, 1.0, v7
	v_rcp_f32_e32 v7, v7
	s_waitcnt_depctr 0xfff
	v_fma_f32 v7, v7, -2.0, 1.0
.LBB19_39:                              ;   in Loop: Header=BB19_17 Depth=1
	s_and_not1_saveexec_b32 s18, s18
; %bb.40:                               ;   in Loop: Header=BB19_17 Depth=1
	v_mul_f32_e32 v7, v5, v5
	s_delay_alu instid0(VALU_DEP_1) | instskip(NEXT) | instid1(VALU_DEP_1)
	v_fmaak_f32 v8, s17, v7, 0x3ca908c9
	v_fmaak_f32 v8, v7, v8, 0xbd5c1c4e
	s_delay_alu instid0(VALU_DEP_1) | instskip(NEXT) | instid1(VALU_DEP_1)
	v_fmaak_f32 v8, v7, v8, 0x3e088382
	v_fmaak_f32 v8, v7, v8, 0xbeaaaa99
	s_delay_alu instid0(VALU_DEP_1) | instskip(NEXT) | instid1(VALU_DEP_1)
	v_mul_f32_e64 v8, |v5|, v8
	v_fma_f32 v7, v7, v8, |v5|
; %bb.41:                               ;   in Loop: Header=BB19_17 Depth=1
	s_or_b32 exec_lo, exec_lo, s18
	v_bfi_b32 v4, 0x7fffffff, v6, v4
	s_delay_alu instid0(VALU_DEP_2) | instskip(SKIP_1) | instid1(VALU_DEP_3)
	v_bfi_b32 v5, 0x7fffffff, v7, v5
	v_cmp_ngt_f32_e64 s18, 0x3f200000, |v26|
                                        ; implicit-def: $vgpr71
	v_fma_f32 v74, s8, v4, v65
	s_delay_alu instid0(VALU_DEP_3) | instskip(NEXT) | instid1(VALU_DEP_1)
	v_fma_f32 v75, s8, v5, v64
	v_dual_add_f32 v4, 0x40051340, v74 :: v_dual_add_f32 v5, 0x40051340, v75
	s_delay_alu instid0(VALU_DEP_1) | instskip(SKIP_3) | instid1(VALU_DEP_1)
	v_max3_f32 v4, v23, v4, v5
	ds_bpermute_b32 v5, v68, v4
	s_waitcnt lgkmcnt(0)
	v_max_f32_e32 v5, v5, v5
	v_max_f32_e32 v4, v4, v5
	ds_bpermute_b32 v5, v67, v4
	s_waitcnt lgkmcnt(0)
	v_max_f32_e32 v5, v5, v5
	s_delay_alu instid0(VALU_DEP_1) | instskip(SKIP_3) | instid1(VALU_DEP_1)
	v_max_f32_e32 v4, v4, v5
	ds_bpermute_b32 v5, v66, v4
	s_waitcnt lgkmcnt(0)
	v_max_f32_e32 v5, v5, v5
	v_max_f32_e32 v4, v4, v5
	ds_bpermute_b32 v5, v63, v4
	s_waitcnt lgkmcnt(0)
	v_max_f32_e32 v5, v5, v5
	s_delay_alu instid0(VALU_DEP_1) | instskip(SKIP_2) | instid1(SALU_CYCLE_1)
	v_max_f32_e32 v61, v4, v5
	ds_bpermute_b32 v62, v3, v61
	s_and_saveexec_b32 s19, s18
	s_xor_b32 s18, exec_lo, s19
	s_cbranch_execz .LBB19_43
; %bb.42:                               ;   in Loop: Header=BB19_17 Depth=1
	v_add_f32_e64 v4, |v26|, |v26|
	s_delay_alu instid0(VALU_DEP_1) | instskip(SKIP_1) | instid1(VALU_DEP_2)
	v_mul_f32_e32 v5, 0x3fb8aa3b, v4
	v_cmp_ngt_f32_e32 vcc_lo, 0xc2ce8ed0, v4
	v_rndne_f32_e32 v6, v5
	v_fma_f32 v7, 0x3fb8aa3b, v4, -v5
	s_delay_alu instid0(VALU_DEP_2) | instskip(NEXT) | instid1(VALU_DEP_2)
	v_sub_f32_e32 v5, v5, v6
	v_fmac_f32_e32 v7, 0x32a5705f, v4
	v_cvt_i32_f32_e32 v6, v6
	s_delay_alu instid0(VALU_DEP_2) | instskip(NEXT) | instid1(VALU_DEP_1)
	v_add_f32_e32 v5, v5, v7
	v_exp_f32_e32 v5, v5
	s_waitcnt_depctr 0xfff
	v_ldexp_f32 v5, v5, v6
	s_delay_alu instid0(VALU_DEP_1) | instskip(SKIP_1) | instid1(VALU_DEP_2)
	v_cndmask_b32_e32 v5, 0, v5, vcc_lo
	v_cmp_nlt_f32_e32 vcc_lo, 0x42b17218, v4
	v_cndmask_b32_e32 v4, 0x7f800000, v5, vcc_lo
	s_delay_alu instid0(VALU_DEP_1) | instskip(NEXT) | instid1(VALU_DEP_1)
	v_add_f32_e32 v4, 1.0, v4
	v_rcp_f32_e32 v4, v4
	s_waitcnt_depctr 0xfff
	v_fma_f32 v71, v4, -2.0, 1.0
.LBB19_43:                              ;   in Loop: Header=BB19_17 Depth=1
	s_and_not1_saveexec_b32 s18, s18
; %bb.44:                               ;   in Loop: Header=BB19_17 Depth=1
	v_mul_f32_e32 v4, v26, v26
	s_delay_alu instid0(VALU_DEP_1) | instskip(NEXT) | instid1(VALU_DEP_1)
	v_fmaak_f32 v5, s17, v4, 0x3ca908c9
	v_fmaak_f32 v5, v4, v5, 0xbd5c1c4e
	s_delay_alu instid0(VALU_DEP_1) | instskip(NEXT) | instid1(VALU_DEP_1)
	v_fmaak_f32 v5, v4, v5, 0x3e088382
	v_fmaak_f32 v5, v4, v5, 0xbeaaaa99
	s_delay_alu instid0(VALU_DEP_1) | instskip(NEXT) | instid1(VALU_DEP_1)
	v_mul_f32_e64 v5, |v26|, v5
	v_fma_f32 v71, v4, v5, |v26|
; %bb.45:                               ;   in Loop: Header=BB19_17 Depth=1
	s_or_b32 exec_lo, exec_lo, s18
	v_cmp_ngt_f32_e64 s18, 0x3f200000, |v54|
                                        ; implicit-def: $vgpr76
	s_delay_alu instid0(VALU_DEP_1) | instskip(NEXT) | instid1(SALU_CYCLE_1)
	s_and_saveexec_b32 s19, s18
	s_xor_b32 s18, exec_lo, s19
	s_cbranch_execz .LBB19_47
; %bb.46:                               ;   in Loop: Header=BB19_17 Depth=1
	v_add_f32_e64 v4, |v54|, |v54|
	s_delay_alu instid0(VALU_DEP_1) | instskip(SKIP_1) | instid1(VALU_DEP_2)
	v_mul_f32_e32 v5, 0x3fb8aa3b, v4
	v_cmp_ngt_f32_e32 vcc_lo, 0xc2ce8ed0, v4
	v_rndne_f32_e32 v6, v5
	v_fma_f32 v7, 0x3fb8aa3b, v4, -v5
	s_delay_alu instid0(VALU_DEP_2) | instskip(NEXT) | instid1(VALU_DEP_2)
	v_sub_f32_e32 v5, v5, v6
	v_fmac_f32_e32 v7, 0x32a5705f, v4
	v_cvt_i32_f32_e32 v6, v6
	s_delay_alu instid0(VALU_DEP_2) | instskip(NEXT) | instid1(VALU_DEP_1)
	v_add_f32_e32 v5, v5, v7
	v_exp_f32_e32 v5, v5
	s_waitcnt_depctr 0xfff
	v_ldexp_f32 v5, v5, v6
	s_delay_alu instid0(VALU_DEP_1) | instskip(SKIP_1) | instid1(VALU_DEP_2)
	v_cndmask_b32_e32 v5, 0, v5, vcc_lo
	v_cmp_nlt_f32_e32 vcc_lo, 0x42b17218, v4
	v_cndmask_b32_e32 v4, 0x7f800000, v5, vcc_lo
	s_delay_alu instid0(VALU_DEP_1) | instskip(NEXT) | instid1(VALU_DEP_1)
	v_add_f32_e32 v4, 1.0, v4
	v_rcp_f32_e32 v4, v4
	s_waitcnt_depctr 0xfff
	v_fma_f32 v76, v4, -2.0, 1.0
.LBB19_47:                              ;   in Loop: Header=BB19_17 Depth=1
	s_and_not1_saveexec_b32 s18, s18
; %bb.48:                               ;   in Loop: Header=BB19_17 Depth=1
	v_mul_f32_e32 v4, v54, v54
	s_delay_alu instid0(VALU_DEP_1) | instskip(NEXT) | instid1(VALU_DEP_1)
	v_fmaak_f32 v5, s17, v4, 0x3ca908c9
	v_fmaak_f32 v5, v4, v5, 0xbd5c1c4e
	s_delay_alu instid0(VALU_DEP_1) | instskip(NEXT) | instid1(VALU_DEP_1)
	v_fmaak_f32 v5, v4, v5, 0x3e088382
	v_fmaak_f32 v5, v4, v5, 0xbeaaaa99
	s_delay_alu instid0(VALU_DEP_1) | instskip(NEXT) | instid1(VALU_DEP_1)
	v_mul_f32_e64 v5, |v54|, v5
	v_fma_f32 v76, v4, v5, |v54|
; %bb.49:                               ;   in Loop: Header=BB19_17 Depth=1
	s_or_b32 exec_lo, exec_lo, s18
	s_mul_hi_i32 s19, s4, s5
	s_mul_i32 s18, s4, s5
	v_dual_max_f32 v77, v60, v60 :: v_dual_max_f32 v2, v2, v2
	s_lshl_b64 s[18:19], s[18:19], 2
	v_max_f32_e32 v78, v1, v1
	s_add_u32 s18, s11, s18
	s_addc_u32 s19, s16, s19
	v_add_co_u32 v4, vcc_lo, s18, v19
	s_waitcnt lgkmcnt(0)
	v_dual_max_f32 v0, v0, v0 :: v_dual_max_f32 v79, v62, v62
	v_dual_max_f32 v1, v2, v77 :: v_dual_add_nc_u32 v62, 0x3800, v36
	v_add_co_ci_u32_e32 v5, vcc_lo, s19, v20, vcc_lo
	v_add_co_u32 v6, vcc_lo, s18, v21
	v_add_co_ci_u32_e32 v7, vcc_lo, s19, v22, vcc_lo
	v_bfi_b32 v26, 0x7fffffff, v71, v26
	v_bfi_b32 v76, 0x7fffffff, v76, v54
	v_dual_max_f32 v80, v61, v61 :: v_dual_add_nc_u32 v71, v35, v36
	v_add_nc_u32_e32 v61, 0x4000, v36
	v_dual_sub_f32 v73, v73, v1 :: v_dual_add_nc_u32 v54, 0x4800, v36
	v_max_f32_e32 v0, v0, v78
	v_add_co_u32 v4, vcc_lo, v4, v40
	v_add_co_ci_u32_e32 v5, vcc_lo, 0, v5, vcc_lo
	s_delay_alu instid0(VALU_DEP_4)
	v_mul_f32_e32 v81, 0x3fb8aa3b, v73
	v_add_co_u32 v8, vcc_lo, v6, v40
	v_dual_fmac_f32 v65, s8, v26 :: v_dual_add_nc_u32 v60, 0x3000, v36
	v_dual_max_f32 v2, v80, v79 :: v_dual_sub_f32 v69, v69, v0
	v_fmac_f32_e32 v64, s8, v76
	v_add_co_ci_u32_e32 v9, vcc_lo, 0, v7, vcc_lo
	s_delay_alu instid0(VALU_DEP_3)
	v_sub_f32_e32 v75, v75, v2
	s_barrier
	buffer_gl0_inv
	s_clause 0x1
	global_load_b128 v[4:7], v[4:5], off
	global_load_b128 v[8:11], v[8:9], off
	v_dual_add_f32 v26, 0x40051340, v65 :: v_dual_sub_f32 v77, v24, v0
	v_add_f32_e32 v76, 0x40051340, v64
	v_sub_f32_e32 v74, v74, v2
	v_sub_f32_e32 v70, v70, v0
	s_or_b32 s18, s4, 32
	v_mul_f32_e32 v83, 0x3fb8aa3b, v77
	v_max3_f32 v24, v53, v26, v76
	v_dual_sub_f32 v76, v25, v1 :: v_dual_mul_f32 v87, 0x3fb8aa3b, v74
	s_mul_hi_i32 s19, s18, s5
	s_mul_i32 s18, s18, s5
	ds_bpermute_b32 v25, v68, v24
	v_dual_sub_f32 v68, v72, v1 :: v_dual_mul_f32 v85, 0x3fb8aa3b, v76
	s_lshl_b64 s[18:19], s[18:19], 2
	v_rndne_f32_e32 v91, v81
	v_mul_f32_e32 v82, 0x3fb8aa3b, v69
	s_add_u32 s18, s11, s18
	s_addc_u32 s19, s16, s19
	v_fma_f32 v90, 0x3fb8aa3b, v73, -v81
	v_sub_f32_e32 v81, v81, v91
	v_rndne_f32_e32 v93, v82
	v_rndne_f32_e32 v95, v83
	v_mul_f32_e32 v84, 0x3fb8aa3b, v68
	v_fma_f32 v92, 0x3fb8aa3b, v69, -v82
	v_fma_f32 v94, 0x3fb8aa3b, v77, -v83
	;; [unrolled: 1-line block ×3, first 2 shown]
	v_sub_f32_e32 v83, v83, v95
	v_fma_f32 v96, 0x3fb8aa3b, v68, -v84
	v_rndne_f32_e32 v99, v85
	v_rndne_f32_e32 v97, v84
	s_waitcnt lgkmcnt(0)
	v_dual_max_f32 v25, v25, v25 :: v_dual_sub_f32 v72, v23, v2
	v_add_co_u32 v23, vcc_lo, s18, v19
	v_add_co_ci_u32_e32 v26, vcc_lo, s19, v20, vcc_lo
	s_delay_alu instid0(VALU_DEP_3)
	v_max_f32_e32 v89, v24, v25
	v_add_co_u32 v78, vcc_lo, s18, v21
	v_add_co_ci_u32_e32 v79, vcc_lo, s19, v22, vcc_lo
	ds_bpermute_b32 v67, v67, v89
	v_add_co_u32 v23, vcc_lo, v23, v40
	v_add_co_ci_u32_e32 v24, vcc_lo, 0, v26, vcc_lo
	v_add_co_u32 v25, vcc_lo, v78, v40
	v_add_co_ci_u32_e32 v26, vcc_lo, 0, v79, vcc_lo
	v_dual_mul_f32 v88, 0x3fb8aa3b, v72 :: v_dual_sub_f32 v85, v85, v99
	v_rndne_f32_e32 v103, v87
	v_fmac_f32_e32 v98, 0x32a5705f, v76
	v_sub_f32_e32 v84, v84, v97
	v_cmp_ngt_f32_e32 vcc_lo, 0xc2ce8ed0, v70
	v_fma_f32 v104, 0x3fb8aa3b, v72, -v88
	v_rndne_f32_e32 v105, v88
	s_waitcnt lgkmcnt(0)
	v_dual_max_f32 v67, v67, v67 :: v_dual_mul_f32 v80, 0x3fb8aa3b, v70
	v_fma_f32 v102, 0x3fb8aa3b, v74, -v87
	v_sub_f32_e32 v87, v87, v103
	s_delay_alu instid0(VALU_DEP_3) | instskip(NEXT) | instid1(VALU_DEP_4)
	v_max_f32_e32 v67, v89, v67
	v_fma_f32 v78, 0x3fb8aa3b, v70, -v80
	v_rndne_f32_e32 v79, v80
	v_cvt_i32_f32_e32 v89, v91
	v_cvt_i32_f32_e32 v91, v93
	ds_bpermute_b32 v66, v66, v67
	v_fmac_f32_e32 v78, 0x32a5705f, v70
	v_sub_f32_e32 v80, v80, v79
	v_cvt_i32_f32_e32 v79, v79
	s_waitcnt lgkmcnt(0)
	v_max_f32_e32 v66, v66, v66
	s_delay_alu instid0(VALU_DEP_1)
	v_max_f32_e32 v66, v67, v66
	v_add_f32_e32 v67, v85, v98
	v_add_f32_e32 v78, v80, v78
	ds_bpermute_b32 v63, v63, v66
	v_sub_f32_e32 v82, v82, v93
	v_exp_f32_e32 v78, v78
	v_cvt_i32_f32_e32 v93, v95
	v_cvt_i32_f32_e32 v95, v97
	v_exp_f32_e32 v67, v67
	v_cvt_i32_f32_e32 v97, v99
	s_waitcnt_depctr 0xfff
	v_ldexp_f32 v78, v78, v79
	v_ldexp_f32 v67, v67, v97
	s_delay_alu instid0(VALU_DEP_2) | instskip(SKIP_3) | instid1(VALU_DEP_1)
	v_cndmask_b32_e32 v78, 0, v78, vcc_lo
	v_cmp_ngt_f32_e32 vcc_lo, 0xc2ce8ed0, v73
	s_waitcnt lgkmcnt(0)
	v_dual_max_f32 v63, v63, v63 :: v_dual_fmac_f32 v96, 0x32a5705f, v68
	v_dual_max_f32 v63, v66, v63 :: v_dual_fmac_f32 v90, 0x32a5705f, v73
	ds_bpermute_b32 v3, v3, v63
	v_add_f32_e32 v80, v81, v90
	v_fmac_f32_e32 v102, 0x32a5705f, v74
	s_delay_alu instid0(VALU_DEP_2) | instskip(SKIP_4) | instid1(VALU_DEP_2)
	v_exp_f32_e32 v80, v80
	s_waitcnt_depctr 0xfff
	v_ldexp_f32 v79, v80, v89
	s_waitcnt lgkmcnt(0)
	v_dual_fmac_f32 v94, 0x32a5705f, v77 :: v_dual_max_f32 v3, v3, v3
	v_dual_cndmask_b32 v79, 0, v79 :: v_dual_fmac_f32 v92, 0x32a5705f, v69
	v_dual_add_f32 v85, v87, v102 :: v_dual_mul_f32 v86, 0x3fb8aa3b, v75
	s_delay_alu instid0(VALU_DEP_3) | instskip(NEXT) | instid1(VALU_DEP_3)
	v_dual_fmac_f32 v104, 0x32a5705f, v72 :: v_dual_max_f32 v3, v63, v3
	v_dual_add_f32 v81, v82, v92 :: v_dual_add_f32 v82, v83, v94
	s_delay_alu instid0(VALU_DEP_3) | instskip(SKIP_1) | instid1(VALU_DEP_4)
	v_fma_f32 v100, 0x3fb8aa3b, v75, -v86
	v_rndne_f32_e32 v101, v86
	v_sub_f32_e32 v53, v53, v3
	s_delay_alu instid0(VALU_DEP_4)
	v_exp_f32_e32 v81, v81
	v_add_f32_e32 v83, v84, v96
	v_exp_f32_e32 v82, v82
	v_fmac_f32_e32 v100, 0x32a5705f, v75
	v_sub_f32_e32 v86, v86, v101
	v_cmp_ngt_f32_e32 vcc_lo, 0xc2ce8ed0, v69
	v_exp_f32_e32 v83, v83
	v_cvt_i32_f32_e32 v99, v101
	v_exp_f32_e32 v85, v85
	v_add_f32_e32 v84, v86, v100
	v_ldexp_f32 v80, v81, v91
	v_cvt_i32_f32_e32 v101, v103
	v_ldexp_f32 v81, v82, v93
	v_cvt_i32_f32_e32 v87, v105
	v_exp_f32_e32 v84, v84
	v_cndmask_b32_e32 v66, 0, v80, vcc_lo
	v_cmp_ngt_f32_e32 vcc_lo, 0xc2ce8ed0, v77
	v_ldexp_f32 v82, v83, v95
	v_cndmask_b32_e32 v80, 0, v81, vcc_lo
	v_sub_f32_e32 v88, v88, v105
	v_cmp_ngt_f32_e32 vcc_lo, 0xc2ce8ed0, v68
	s_delay_alu instid0(TRANS32_DEP_1) | instskip(SKIP_1) | instid1(VALU_DEP_4)
	v_ldexp_f32 v83, v84, v99
	v_ldexp_f32 v84, v85, v101
	v_dual_add_f32 v86, v88, v104 :: v_dual_cndmask_b32 v81, 0, v82
	v_cmp_ngt_f32_e32 vcc_lo, 0xc2ce8ed0, v76
	s_delay_alu instid0(VALU_DEP_2)
	v_exp_f32_e32 v86, v86
	v_cndmask_b32_e32 v67, 0, v67, vcc_lo
	v_cmp_ngt_f32_e32 vcc_lo, 0xc2ce8ed0, v75
	v_cndmask_b32_e32 v82, 0, v83, vcc_lo
	v_cmp_ngt_f32_e32 vcc_lo, 0xc2ce8ed0, v74
	s_waitcnt_depctr 0xfff
	v_ldexp_f32 v85, v86, v87
	v_cndmask_b32_e32 v83, 0, v84, vcc_lo
	v_cmp_ngt_f32_e32 vcc_lo, 0xc2ce8ed0, v72
	s_delay_alu instid0(VALU_DEP_3)
	v_cndmask_b32_e32 v84, 0, v85, vcc_lo
	v_cmp_nlt_f32_e32 vcc_lo, 0x42b17218, v70
	v_cndmask_b32_e32 v70, 0x7f800000, v78, vcc_lo
	v_cmp_nlt_f32_e32 vcc_lo, 0x42b17218, v73
	;; [unrolled: 2-line block ×4, first 2 shown]
	v_mul_f32_e32 v77, 0x3fb8aa3b, v53
	s_delay_alu instid0(VALU_DEP_3) | instskip(SKIP_2) | instid1(VALU_DEP_2)
	v_add_f32_e32 v63, v66, v70
	v_cndmask_b32_e32 v69, 0x7f800000, v80, vcc_lo
	v_cmp_nlt_f32_e32 vcc_lo, 0x42b17218, v68
	v_fmac_f32_e32 v63, v52, v69
	v_cndmask_b32_e32 v68, 0x7f800000, v81, vcc_lo
	v_cmp_nlt_f32_e32 vcc_lo, 0x42b17218, v76
	v_cvt_f16_f32_e32 v76, v73
	v_cvt_f16_f32_e64 v180, v69
	v_cndmask_b32_e32 v178, 0x7f800000, v67, vcc_lo
	v_cmp_nlt_f32_e32 vcc_lo, 0x42b17218, v75
	v_sub_f32_e32 v75, v64, v3
	s_delay_alu instid0(VALU_DEP_4) | instskip(NEXT) | instid1(VALU_DEP_4)
	v_pk_mul_f16 v48, v180, v48 op_sel_hi:[0,1]
	v_cvt_f16_f32_e64 v181, v178
	v_cndmask_b32_e32 v67, 0x7f800000, v82, vcc_lo
	v_cmp_nlt_f32_e32 vcc_lo, 0x42b17218, v74
	v_fma_f32 v82, 0x3fb8aa3b, v53, -v77
	s_delay_alu instid0(VALU_DEP_4)
	v_pk_mul_f16 v47, v181, v47 op_sel_hi:[0,1]
	v_cndmask_b32_e32 v74, 0x7f800000, v83, vcc_lo
	v_cmp_nlt_f32_e32 vcc_lo, 0x42b17218, v72
	v_sub_f32_e32 v72, v65, v3
	v_rndne_f32_e32 v83, v77
	v_mul_f32_e32 v65, 0x3fb8aa3b, v75
	v_fmac_f32_e32 v82, 0x32a5705f, v53
	s_delay_alu instid0(VALU_DEP_3) | instskip(NEXT) | instid1(VALU_DEP_3)
	v_dual_mul_f32 v64, 0x3fb8aa3b, v72 :: v_dual_sub_f32 v77, v77, v83
	v_fma_f32 v80, 0x3fb8aa3b, v75, -v65
	v_rndne_f32_e32 v81, v65
	s_delay_alu instid0(VALU_DEP_3)
	v_fma_f32 v78, 0x3fb8aa3b, v72, -v64
	v_rndne_f32_e32 v79, v64
	v_add_f32_e32 v77, v77, v82
	v_cndmask_b32_e32 v179, 0x7f800000, v84, vcc_lo
	v_fmac_f32_e32 v80, 0x32a5705f, v75
	v_fmac_f32_e32 v78, 0x32a5705f, v72
	v_dual_sub_f32 v84, v64, v79 :: v_dual_sub_f32 v65, v65, v81
	v_add_f32_e32 v64, v73, v68
	v_cvt_i32_f32_e32 v79, v79
	v_exp_f32_e32 v77, v77
	s_delay_alu instid0(VALU_DEP_3) | instskip(SKIP_3) | instid1(VALU_DEP_4)
	v_dual_add_f32 v73, v84, v78 :: v_dual_add_f32 v78, v65, v80
	v_cvt_i32_f32_e32 v80, v81
	v_cmp_ngt_f32_e32 vcc_lo, 0xc2ce8ed0, v72
	v_cvt_i32_f32_e32 v81, v83
	v_exp_f32_e32 v73, v73
	v_exp_f32_e32 v78, v78
	v_add_f32_e32 v65, v74, v67
	v_cvt_f16_f32_e32 v70, v70
	s_delay_alu instid0(TRANS32_DEP_3)
	v_ldexp_f32 v69, v77, v81
	v_cvt_f16_f32_e32 v68, v68
	v_cvt_f16_f32_e32 v67, v67
	;; [unrolled: 1-line block ×3, first 2 shown]
	v_fmac_f32_e32 v65, v50, v179
	v_cvt_f16_f32_e32 v66, v66
	v_ldexp_f32 v73, v73, v79
	v_ldexp_f32 v52, v78, v80
	v_cvt_f16_f32_e64 v182, v179
	s_delay_alu instid0(VALU_DEP_3) | instskip(SKIP_1) | instid1(VALU_DEP_3)
	v_cndmask_b32_e32 v73, 0, v73, vcc_lo
	v_cmp_ngt_f32_e32 vcc_lo, 0xc2ce8ed0, v75
	v_pk_mul_f16 v45, v182, v45 op_sel_hi:[0,1]
	v_cndmask_b32_e32 v52, 0, v52, vcc_lo
	v_cmp_ngt_f32_e32 vcc_lo, 0xc2ce8ed0, v53
	v_cndmask_b32_e32 v69, 0, v69, vcc_lo
	v_cmp_nlt_f32_e32 vcc_lo, 0x42b17218, v72
	v_cndmask_b32_e32 v183, 0x7f800000, v73, vcc_lo
	v_cmp_nlt_f32_e32 vcc_lo, 0x42b17218, v75
	;; [unrolled: 2-line block ×3, first 2 shown]
	s_delay_alu instid0(VALU_DEP_4)
	v_cvt_f16_f32_e64 v53, v183
	v_pack_b32_f16 v52, v66, v76
	v_pack_b32_f16 v66, v70, v68
	v_cndmask_b32_e32 v185, 0x7f800000, v69, vcc_lo
	v_cvt_f16_f32_e64 v69, v184
	v_pack_b32_f16 v53, v74, v53
	v_fmac_f32_e32 v64, v49, v178
	s_delay_alu instid0(VALU_DEP_4) | instskip(NEXT) | instid1(VALU_DEP_4)
	v_cvt_f16_f32_e64 v68, v185
	v_pack_b32_f16 v67, v67, v69
	ds_store_2addr_b64 v71, v[52:53], v[66:67] offset1:32
	s_waitcnt vmcnt(1)
	ds_store_b128 v37, v[4:7]
	s_waitcnt vmcnt(0)
	ds_store_b128 v38, v[8:11]
	v_pk_mul_f16 v43, v68, v43 op_sel_hi:[0,1]
	v_pk_mul_f16 v41, v68, v41 op_sel_hi:[0,1]
	s_waitcnt lgkmcnt(0)
	s_barrier
	buffer_gl0_inv
	ds_load_2addr_b64 v[4:7], v60 offset1:32
	ds_load_b128 v[8:11], v35
	ds_load_b128 v[66:69], v35 offset:16
	ds_load_b128 v[70:73], v35 offset:32
	;; [unrolled: 1-line block ×3, first 2 shown]
	ds_load_2addr_b64 v[78:81], v60 offset0:64 offset1:96
	ds_load_2addr_b64 v[82:85], v60 offset0:128 offset1:160
	;; [unrolled: 1-line block ×3, first 2 shown]
	ds_load_2addr_b64 v[90:93], v62 offset1:32
	ds_load_2addr_b64 v[94:97], v62 offset0:64 offset1:96
	ds_load_b128 v[98:101], v35 offset:64
	ds_load_b128 v[102:105], v35 offset:80
	ds_load_2addr_b64 v[106:109], v62 offset0:128 offset1:160
	ds_load_2addr_b64 v[110:113], v62 offset0:192 offset1:224
	ds_load_b128 v[114:117], v35 offset:96
	ds_load_b128 v[118:121], v35 offset:112
	ds_load_2addr_b64 v[122:125], v61 offset1:32
	ds_load_2addr_b64 v[126:129], v61 offset0:64 offset1:96
	ds_load_b128 v[130:133], v35 offset:128
	ds_load_b128 v[134:137], v35 offset:144
	ds_load_2addr_b64 v[138:141], v61 offset0:128 offset1:160
	ds_load_2addr_b64 v[142:145], v61 offset0:192 offset1:224
	ds_load_b128 v[146:149], v35 offset:160
	ds_load_b128 v[150:153], v35 offset:176
	ds_load_2addr_b64 v[154:157], v54 offset1:32
	ds_load_2addr_b64 v[158:161], v54 offset0:64 offset1:96
	s_waitcnt lgkmcnt(24)
	v_pk_mul_f16 v52, v4, v8 op_sel_hi:[1,0]
	v_pk_mul_f16 v53, v4, v9 op_sel_hi:[1,0]
	v_pk_fma_f16 v45, v5, v9, v45 op_sel_hi:[1,0,1]
	ds_load_b128 v[162:165], v35 offset:192
	ds_load_b128 v[166:169], v35 offset:208
	ds_load_2addr_b64 v[170:173], v54 offset0:128 offset1:160
	ds_load_2addr_b64 v[174:177], v54 offset0:192 offset1:224
	v_pk_fma_f16 v46, v180, v46, v52 op_sel_hi:[0,1,1]
	v_pk_mul_f16 v52, v4, v8 op_sel:[0,1]
	v_pk_fma_f16 v4, v4, v9, v43 op_sel:[0,1,0]
	v_pk_fma_f16 v43, v5, v8, v48 op_sel_hi:[1,0,1]
	v_pk_fma_f16 v8, v5, v8, v47 op_sel:[0,1,0]
	v_pk_fma_f16 v5, v5, v9, v41 op_sel:[0,1,0]
	v_pk_fma_f16 v9, v181, v44, v52 op_sel_hi:[0,1,1]
	v_pk_fma_f16 v41, v182, v42, v53 op_sel_hi:[0,1,1]
	v_pk_fma_f16 v52, v6, v11, v4 op_sel:[0,1,0]
	v_pk_fma_f16 v53, v7, v10, v43 op_sel_hi:[1,0,1]
	v_pk_fma_f16 v180, v7, v10, v8 op_sel:[0,1,0]
	;; [unrolled: 2-line block ×4, first 2 shown]
	v_pk_fma_f16 v10, v6, v11, v41 op_sel_hi:[1,0,1]
	ds_load_b128 v[5:8], v35 offset:224
	ds_load_b128 v[41:44], v35 offset:240
	s_waitcnt lgkmcnt(0)
	s_barrier
	buffer_gl0_inv
	s_clause 0x1
	global_load_b128 v[45:48], v[23:24], off
	global_load_b128 v[23:26], v[25:26], off
	v_add_f32_e32 v4, v183, v184
	v_pk_fma_f16 v11, v78, v67, v52 op_sel:[0,1,0]
	v_pk_fma_f16 v49, v79, v66, v53 op_sel_hi:[1,0,1]
	v_pk_fma_f16 v50, v79, v66, v180 op_sel:[0,1,0]
	v_pk_fma_f16 v52, v79, v67, v182 op_sel:[0,1,0]
	v_fmac_f32_e32 v4, v51, v185
	v_pk_fma_f16 v51, v79, v67, v181 op_sel_hi:[1,0,1]
	v_pk_fma_f16 v53, v78, v66, v186 op_sel_hi:[1,0,1]
	v_pk_fma_f16 v9, v78, v66, v9 op_sel:[0,1,0]
	v_pk_fma_f16 v10, v78, v67, v10 op_sel_hi:[1,0,1]
	v_pk_fma_f16 v11, v80, v69, v11 op_sel:[0,1,0]
	;; [unrolled: 2-line block ×106, first 2 shown]
	v_pk_fma_f16 v10, v173, v7, v49 op_sel_hi:[1,0,1]
	v_pk_fma_f16 v49, v173, v8, v51 op_sel_hi:[1,0,1]
	;; [unrolled: 1-line block ×3, first 2 shown]
	v_pk_fma_f16 v5, v172, v7, v5 op_sel:[0,1,0]
	v_pk_fma_f16 v6, v172, v8, v6 op_sel_hi:[1,0,1]
	v_pk_fma_f16 v11, v173, v7, v50 op_sel:[0,1,0]
	v_pk_fma_f16 v50, v173, v8, v52 op_sel:[0,1,0]
	;; [unrolled: 1-line block ×3, first 2 shown]
	v_pk_fma_f16 v8, v175, v41, v10 op_sel_hi:[1,0,1]
	v_pk_fma_f16 v10, v175, v42, v49 op_sel_hi:[1,0,1]
	;; [unrolled: 1-line block ×3, first 2 shown]
	v_pk_fma_f16 v5, v174, v41, v5 op_sel:[0,1,0]
	v_pk_fma_f16 v6, v174, v42, v6 op_sel_hi:[1,0,1]
	v_pk_fma_f16 v9, v175, v41, v11 op_sel:[0,1,0]
	v_pk_fma_f16 v11, v175, v42, v50 op_sel:[0,1,0]
	;; [unrolled: 1-line block ×3, first 2 shown]
	v_pk_fma_f16 v142, v177, v43, v8 op_sel_hi:[1,0,1]
	v_pk_fma_f16 v143, v176, v43, v49 op_sel_hi:[1,0,1]
	v_pk_fma_f16 v144, v176, v43, v5 op_sel:[0,1,0]
	v_pk_fma_f16 v145, v176, v44, v6 op_sel_hi:[1,0,1]
	v_pk_fma_f16 v9, v177, v43, v9 op_sel:[0,1,0]
	;; [unrolled: 2-line block ×3, first 2 shown]
	s_waitcnt vmcnt(1)
	ds_store_b128 v37, v[45:48]
	s_waitcnt vmcnt(0)
	ds_store_b128 v38, v[23:26]
	s_waitcnt lgkmcnt(0)
	s_barrier
	buffer_gl0_inv
	ds_load_2addr_b64 v[5:8], v60 offset1:32
	ds_load_b128 v[23:26], v35 offset:256
	ds_load_b128 v[41:44], v35 offset:272
	;; [unrolled: 1-line block ×4, first 2 shown]
	ds_load_2addr_b64 v[66:69], v60 offset0:64 offset1:96
	ds_load_2addr_b64 v[70:73], v60 offset0:128 offset1:160
	;; [unrolled: 1-line block ×3, first 2 shown]
	ds_load_2addr_b64 v[78:81], v62 offset1:32
	ds_load_2addr_b64 v[82:85], v62 offset0:64 offset1:96
	ds_load_b128 v[86:89], v35 offset:320
	ds_load_b128 v[90:93], v35 offset:336
	ds_load_2addr_b64 v[94:97], v62 offset0:128 offset1:160
	ds_load_2addr_b64 v[98:101], v62 offset0:192 offset1:224
	ds_load_b128 v[102:105], v35 offset:352
	ds_load_b128 v[106:109], v35 offset:368
	ds_load_2addr_b64 v[110:113], v61 offset1:32
	ds_load_2addr_b64 v[114:117], v61 offset0:64 offset1:96
	ds_load_b128 v[118:121], v35 offset:384
	ds_load_b128 v[122:125], v35 offset:400
	ds_load_2addr_b64 v[126:129], v61 offset0:128 offset1:160
	ds_load_2addr_b64 v[130:133], v61 offset0:192 offset1:224
	ds_load_b128 v[134:137], v35 offset:416
	ds_load_b128 v[138:141], v35 offset:432
	s_waitcnt lgkmcnt(22)
	v_pk_fma_f16 v60, v5, v23, v143 op_sel_hi:[1,0,1]
	v_pk_fma_f16 v61, v5, v23, v144 op_sel:[0,1,0]
	v_pk_fma_f16 v62, v5, v24, v145 op_sel_hi:[1,0,1]
	v_pk_fma_f16 v5, v5, v24, v53 op_sel:[0,1,0]
	;; [unrolled: 2-line block ×8, first 2 shown]
	s_waitcnt lgkmcnt(18)
	v_pk_fma_f16 v8, v66, v41, v11 op_sel_hi:[1,0,1]
	v_pk_fma_f16 v11, v66, v41, v23 op_sel:[0,1,0]
	v_pk_fma_f16 v23, v66, v42, v24 op_sel_hi:[1,0,1]
	v_pk_fma_f16 v5, v66, v42, v5 op_sel:[0,1,0]
	v_pk_fma_f16 v7, v67, v41, v7 op_sel_hi:[1,0,1]
	v_pk_fma_f16 v6, v67, v42, v6 op_sel:[0,1,0]
	v_pk_fma_f16 v8, v68, v43, v8 op_sel_hi:[1,0,1]
	v_pk_fma_f16 v23, v68, v44, v23 op_sel_hi:[1,0,1]
	v_pk_fma_f16 v5, v68, v44, v5 op_sel:[0,1,0]
	v_pk_fma_f16 v7, v69, v43, v7 op_sel_hi:[1,0,1]
	v_pk_fma_f16 v9, v67, v41, v9 op_sel:[0,1,0]
	v_pk_fma_f16 v10, v67, v42, v10 op_sel_hi:[1,0,1]
	v_pk_fma_f16 v11, v68, v43, v11 op_sel:[0,1,0]
	v_pk_fma_f16 v6, v69, v44, v6 op_sel:[0,1,0]
	s_waitcnt lgkmcnt(17)
	v_pk_fma_f16 v8, v70, v45, v8 op_sel_hi:[1,0,1]
	v_pk_fma_f16 v23, v70, v46, v23 op_sel_hi:[1,0,1]
	v_pk_fma_f16 v5, v70, v46, v5 op_sel:[0,1,0]
	v_pk_fma_f16 v7, v71, v45, v7 op_sel_hi:[1,0,1]
	v_pk_fma_f16 v9, v69, v43, v9 op_sel:[0,1,0]
	v_pk_fma_f16 v10, v69, v44, v10 op_sel_hi:[1,0,1]
	v_pk_fma_f16 v11, v70, v45, v11 op_sel:[0,1,0]
	v_pk_fma_f16 v6, v71, v46, v6 op_sel:[0,1,0]
	v_pk_fma_f16 v8, v72, v47, v8 op_sel_hi:[1,0,1]
	v_pk_fma_f16 v23, v72, v48, v23 op_sel_hi:[1,0,1]
	v_pk_fma_f16 v5, v72, v48, v5 op_sel:[0,1,0]
	v_pk_fma_f16 v7, v73, v47, v7 op_sel_hi:[1,0,1]
	v_pk_fma_f16 v9, v71, v45, v9 op_sel:[0,1,0]
	v_pk_fma_f16 v10, v71, v46, v10 op_sel_hi:[1,0,1]
	v_pk_fma_f16 v11, v72, v47, v11 op_sel:[0,1,0]
	v_pk_fma_f16 v6, v73, v48, v6 op_sel:[0,1,0]
	s_waitcnt lgkmcnt(16)
	v_pk_fma_f16 v8, v74, v49, v8 op_sel_hi:[1,0,1]
	v_pk_fma_f16 v23, v74, v50, v23 op_sel_hi:[1,0,1]
	v_pk_fma_f16 v5, v74, v50, v5 op_sel:[0,1,0]
	v_pk_fma_f16 v7, v75, v49, v7 op_sel_hi:[1,0,1]
	v_pk_fma_f16 v9, v73, v47, v9 op_sel:[0,1,0]
	v_pk_fma_f16 v10, v73, v48, v10 op_sel_hi:[1,0,1]
	v_pk_fma_f16 v11, v74, v49, v11 op_sel:[0,1,0]
	v_pk_fma_f16 v6, v75, v50, v6 op_sel:[0,1,0]
	;; [unrolled: 17-line block ×9, first 2 shown]
	v_pk_fma_f16 v42, v128, v136, v8 op_sel_hi:[1,0,1]
	v_pk_fma_f16 v43, v128, v137, v23 op_sel_hi:[1,0,1]
	v_pk_fma_f16 v44, v128, v137, v5 op_sel:[0,1,0]
	v_pk_fma_f16 v45, v129, v136, v7 op_sel_hi:[1,0,1]
	ds_load_2addr_b64 v[5:8], v54 offset1:32
	ds_load_b128 v[23:26], v35 offset:448
	v_pk_fma_f16 v9, v127, v134, v9 op_sel:[0,1,0]
	v_pk_fma_f16 v10, v127, v135, v10 op_sel_hi:[1,0,1]
	v_pk_fma_f16 v11, v128, v136, v11 op_sel:[0,1,0]
	v_pk_fma_f16 v41, v129, v137, v41 op_sel:[0,1,0]
	s_waitcnt lgkmcnt(2)
	v_pk_fma_f16 v42, v130, v138, v42 op_sel_hi:[1,0,1]
	v_pk_fma_f16 v9, v129, v136, v9 op_sel:[0,1,0]
	v_pk_fma_f16 v10, v129, v137, v10 op_sel_hi:[1,0,1]
	v_pk_fma_f16 v11, v130, v138, v11 op_sel:[0,1,0]
	;; [unrolled: 2-line block ×7, first 2 shown]
	v_pk_fma_f16 v53, v133, v140, v45 op_sel_hi:[1,0,1]
	ds_load_2addr_b64 v[41:44], v54 offset0:64 offset1:96
	ds_load_b128 v[45:48], v35 offset:464
	v_pk_fma_f16 v9, v133, v140, v9 op_sel:[0,1,0]
	v_pk_fma_f16 v10, v133, v141, v10 op_sel_hi:[1,0,1]
	v_pk_fma_f16 v49, v133, v141, v49 op_sel:[0,1,0]
	s_waitcnt lgkmcnt(2)
	v_pk_fma_f16 v50, v5, v23, v50 op_sel_hi:[1,0,1]
	v_pk_fma_f16 v11, v5, v23, v11 op_sel:[0,1,0]
	v_pk_fma_f16 v51, v5, v24, v51 op_sel_hi:[1,0,1]
	v_pk_fma_f16 v5, v5, v24, v52 op_sel:[0,1,0]
	;; [unrolled: 2-line block ×6, first 2 shown]
	v_pk_fma_f16 v7, v8, v25, v52 op_sel_hi:[1,0,1]
	ds_load_2addr_b64 v[49:52], v54 offset0:128 offset1:160
	ds_load_b128 v[66:69], v35 offset:480
	v_pk_fma_f16 v9, v8, v25, v9 op_sel:[0,1,0]
	v_pk_fma_f16 v10, v8, v26, v10 op_sel_hi:[1,0,1]
	v_pk_fma_f16 v6, v8, v26, v6 op_sel:[0,1,0]
	s_waitcnt lgkmcnt(2)
	v_pk_fma_f16 v8, v41, v45, v23 op_sel_hi:[1,0,1]
	v_pk_fma_f16 v11, v41, v45, v11 op_sel:[0,1,0]
	v_pk_fma_f16 v23, v41, v46, v24 op_sel_hi:[1,0,1]
	v_pk_fma_f16 v5, v41, v46, v5 op_sel:[0,1,0]
	;; [unrolled: 2-line block ×8, first 2 shown]
	ds_load_b128 v[5:8], v35 offset:496
	s_waitcnt lgkmcnt(1)
	v_pk_fma_f16 v45, v49, v66, v24 op_sel_hi:[1,0,1]
	ds_load_2addr_b64 v[23:26], v54 offset0:192 offset1:224
	s_waitcnt lgkmcnt(0)
	s_barrier
	buffer_gl0_inv
	s_load_b32 s18, s[2:3], 0x4
	v_pk_fma_f16 v11, v49, v66, v11 op_sel:[0,1,0]
	v_pk_fma_f16 v41, v49, v67, v41 op_sel_hi:[1,0,1]
	v_pk_fma_f16 v42, v49, v67, v42 op_sel:[0,1,0]
	v_pk_fma_f16 v43, v50, v66, v43 op_sel_hi:[1,0,1]
	;; [unrolled: 2-line block ×11, first 2 shown]
	v_pk_fma_f16 v6, v24, v6, v44 op_sel:[0,1,0]
	s_waitcnt lgkmcnt(0)
	s_lshl_b32 s18, s18, 6
	v_pk_fma_f16 v46, v25, v7, v45 op_sel_hi:[1,0,1]
	v_pk_fma_f16 v44, v25, v7, v11 op_sel:[0,1,0]
	v_pk_fma_f16 v42, v25, v8, v41 op_sel_hi:[1,0,1]
	v_pk_fma_f16 v43, v25, v8, v23 op_sel:[0,1,0]
	;; [unrolled: 2-line block ×4, first 2 shown]
	s_add_i32 s4, s18, s4
	s_delay_alu instid0(SALU_CYCLE_1)
	s_cmp_ge_i32 s4, s34
	s_cbranch_scc1 .LBB19_51
; %bb.50:                               ;   in Loop: Header=BB19_17 Depth=1
	v_dual_mov_b32 v24, v0 :: v_dual_mov_b32 v25, v1
	v_dual_mov_b32 v23, v2 :: v_dual_mov_b32 v52, v63
	;; [unrolled: 1-line block ×3, first 2 shown]
	v_mov_b32_e32 v49, v64
	v_mov_b32_e32 v51, v4
	s_branch .LBB19_17
.LBB19_51:
	v_mov_b32_e32 v8, v29
.LBB19_52:
	v_cmp_lt_i32_e32 vcc_lo, v59, v30
	s_cmp_lg_u64 s[24:25], 0
	s_cselect_b32 s2, -1, 0
	s_cmp_eq_u32 s14, 0
	v_cndmask_b32_e32 v5, v8, v59, vcc_lo
	v_cmp_lt_i32_e32 vcc_lo, v58, v30
	s_cselect_b32 s3, -1, 0
	s_delay_alu instid0(SALU_CYCLE_1) | instskip(SKIP_2) | instid1(VALU_DEP_2)
	s_and_b32 s2, s3, s2
	v_cndmask_b32_e32 v10, v8, v58, vcc_lo
	v_cmp_lt_i32_e32 vcc_lo, v57, v30
	v_lshlrev_b32_e32 v10, 2, v10
	v_lshlrev_b32_e32 v5, 2, v5
	ds_bpermute_b32 v6, v5, v63
	s_waitcnt lgkmcnt(0)
	v_add_f32_e32 v6, v63, v6
	ds_bpermute_b32 v7, v5, v64
	ds_bpermute_b32 v9, v5, v65
	;; [unrolled: 1-line block ×3, first 2 shown]
	s_waitcnt lgkmcnt(2)
	v_add_f32_e32 v7, v64, v7
	s_waitcnt lgkmcnt(1)
	v_add_f32_e32 v9, v65, v9
	ds_bpermute_b32 v11, v10, v7
	v_cndmask_b32_e32 v15, v8, v57, vcc_lo
	s_waitcnt lgkmcnt(1)
	v_add_f32_e32 v4, v4, v5
	ds_bpermute_b32 v5, v10, v6
	ds_bpermute_b32 v14, v10, v9
	v_cmp_lt_i32_e32 vcc_lo, v56, v30
	s_waitcnt lgkmcnt(1)
	v_dual_add_f32 v5, v6, v5 :: v_dual_add_f32 v6, v7, v11
	v_lshlrev_b32_e32 v15, 2, v15
	ds_bpermute_b32 v10, v10, v4
	s_waitcnt lgkmcnt(1)
	v_add_f32_e32 v7, v9, v14
	ds_bpermute_b32 v11, v15, v7
	s_waitcnt lgkmcnt(1)
	v_add_f32_e32 v4, v4, v10
	ds_bpermute_b32 v10, v15, v6
	ds_bpermute_b32 v9, v15, v5
	;; [unrolled: 1-line block ×3, first 2 shown]
	s_waitcnt lgkmcnt(2)
	v_dual_add_f32 v6, v6, v10 :: v_dual_cndmask_b32 v15, v8, v56
	v_cmp_lt_i32_e32 vcc_lo, v55, v30
	s_waitcnt lgkmcnt(0)
	s_delay_alu instid0(VALU_DEP_2)
	v_dual_add_f32 v4, v4, v14 :: v_dual_lshlrev_b32 v15, 2, v15
	v_dual_cndmask_b32 v8, v8, v55 :: v_dual_add_f32 v5, v5, v9
	s_and_b32 vcc_lo, exec_lo, s2
	ds_bpermute_b32 v14, v15, v4
	v_lshlrev_b32_e32 v8, 2, v8
	ds_bpermute_b32 v9, v15, v5
	ds_bpermute_b32 v10, v15, v6
	s_waitcnt lgkmcnt(1)
	v_add_f32_e32 v5, v5, v9
	v_add_f32_e32 v9, v4, v14
	s_waitcnt lgkmcnt(0)
	v_add_f32_e32 v6, v6, v10
	ds_bpermute_b32 v4, v8, v5
	v_add_f32_e32 v7, v7, v11
	ds_bpermute_b32 v10, v8, v6
	s_waitcnt lgkmcnt(1)
	v_add_f32_e32 v4, v5, v4
	ds_bpermute_b32 v11, v15, v7
	s_waitcnt lgkmcnt(1)
	v_add_f32_e32 v5, v6, v10
	s_waitcnt lgkmcnt(0)
	v_add_f32_e32 v7, v7, v11
	ds_bpermute_b32 v11, v8, v7
	ds_bpermute_b32 v8, v8, v9
	s_waitcnt lgkmcnt(0)
	v_dual_add_f32 v6, v7, v11 :: v_dual_add_f32 v7, v9, v8
	s_cbranch_vccz .LBB19_55
; %bb.53:
	v_dual_max_f32 v15, v1, v1 :: v_dual_add_nc_u32 v8, s15, v27
	s_delay_alu instid0(VALU_DEP_1) | instskip(NEXT) | instid1(VALU_DEP_1)
	v_ashrrev_i32_e32 v9, 31, v8
	v_lshlrev_b64 v[8:9], 2, v[8:9]
	s_delay_alu instid0(VALU_DEP_1) | instskip(NEXT) | instid1(VALU_DEP_2)
	v_add_co_u32 v8, vcc_lo, s24, v8
	v_add_co_ci_u32_e32 v9, vcc_lo, s25, v9, vcc_lo
	global_load_b128 v[8:11], v[8:9], off
	v_max_f32_e32 v14, v0, v0
	s_waitcnt vmcnt(0)
	v_dual_max_f32 v16, v2, v2 :: v_dual_max_f32 v17, v8, v8
	v_dual_max_f32 v19, v9, v9 :: v_dual_max_f32 v20, v10, v10
	s_delay_alu instid0(VALU_DEP_2) | instskip(NEXT) | instid1(VALU_DEP_2)
	v_dual_max_f32 v21, v11, v11 :: v_dual_max_f32 v14, v14, v17
	v_dual_max_f32 v15, v15, v19 :: v_dual_max_f32 v16, v16, v20
	v_max_f32_e32 v18, v3, v3
	s_delay_alu instid0(VALU_DEP_2) | instskip(SKIP_1) | instid1(VALU_DEP_3)
	v_dual_sub_f32 v8, v8, v14 :: v_dual_sub_f32 v9, v9, v15
	v_sub_f32_e32 v19, v1, v15
	v_dual_max_f32 v17, v18, v21 :: v_dual_sub_f32 v18, v0, v14
	v_sub_f32_e32 v20, v2, v16
	s_delay_alu instid0(VALU_DEP_2)
	v_dual_sub_f32 v10, v10, v16 :: v_dual_sub_f32 v11, v11, v17
	v_dual_sub_f32 v21, v3, v17 :: v_dual_mov_b32 v0, v14
	v_dual_mov_b32 v1, v15 :: v_dual_mov_b32 v2, v16
	v_mov_b32_e32 v3, v17
	v_dual_mul_f32 v15, 0x3fb8aa3b, v8 :: v_dual_mul_f32 v14, 0x3fb8aa3b, v18
	v_dual_mul_f32 v17, 0x3fb8aa3b, v9 :: v_dual_mul_f32 v16, 0x3fb8aa3b, v19
	;; [unrolled: 1-line block ×3, first 2 shown]
	v_mul_f32_e32 v25, 0x3fb8aa3b, v11
	s_delay_alu instid0(VALU_DEP_4)
	v_fma_f32 v26, 0x3fb8aa3b, v18, -v14
	v_rndne_f32_e32 v29, v14
	v_fma_f32 v30, 0x3fb8aa3b, v8, -v15
	v_rndne_f32_e32 v31, v15
	v_rndne_f32_e32 v35, v17
	;; [unrolled: 1-line block ×3, first 2 shown]
	v_fmac_f32_e32 v26, 0x32a5705f, v18
	v_sub_f32_e32 v14, v14, v29
	v_dual_mul_f32 v24, 0x3fb8aa3b, v21 :: v_dual_sub_f32 v15, v15, v31
	v_fma_f32 v32, 0x3fb8aa3b, v19, -v16
	v_fma_f32 v34, 0x3fb8aa3b, v9, -v17
	;; [unrolled: 1-line block ×3, first 2 shown]
	v_rndne_f32_e32 v51, v25
	v_dual_fmac_f32 v30, 0x32a5705f, v8 :: v_dual_sub_f32 v17, v17, v35
	v_dual_sub_f32 v23, v23, v39 :: v_dual_add_f32 v14, v14, v26
	v_rndne_f32_e32 v33, v16
	v_fma_f32 v50, 0x3fb8aa3b, v11, -v25
	v_dual_fmac_f32 v38, 0x32a5705f, v10 :: v_dual_sub_f32 v25, v25, v51
	v_dual_fmac_f32 v32, 0x32a5705f, v19 :: v_dual_add_f32 v15, v15, v30
	v_exp_f32_e32 v14, v14
	v_cvt_i32_f32_e32 v29, v29
	s_delay_alu instid0(VALU_DEP_3) | instskip(SKIP_3) | instid1(VALU_DEP_3)
	v_dual_fmac_f32 v34, 0x32a5705f, v9 :: v_dual_add_f32 v23, v23, v38
	v_sub_f32_e32 v16, v16, v33
	v_exp_f32_e32 v15, v15
	v_fma_f32 v36, 0x3fb8aa3b, v20, -v22
	v_add_f32_e32 v17, v17, v34
	v_rndne_f32_e32 v37, v22
	v_cvt_i32_f32_e32 v31, v31
	v_add_f32_e32 v16, v16, v32
	v_ldexp_f32 v14, v14, v29
	v_cmp_ngt_f32_e32 vcc_lo, 0xc2ce8ed0, v18
	v_fmac_f32_e32 v50, 0x32a5705f, v11
	v_fmac_f32_e32 v36, 0x32a5705f, v20
	v_exp_f32_e32 v16, v16
	v_ldexp_f32 v15, v15, v31
	v_cndmask_b32_e32 v14, 0, v14, vcc_lo
	v_cmp_ngt_f32_e32 vcc_lo, 0xc2ce8ed0, v8
	v_sub_f32_e32 v22, v22, v37
	v_cvt_i32_f32_e32 v33, v33
	v_add_f32_e32 v25, v25, v50
	v_exp_f32_e32 v17, v17
	s_delay_alu instid0(VALU_DEP_3)
	v_dual_cndmask_b32 v15, 0, v15 :: v_dual_add_f32 v22, v22, v36
	v_cvt_i32_f32_e32 v35, v35
	v_ldexp_f32 v16, v16, v33
	v_cmp_ngt_f32_e32 vcc_lo, 0xc2ce8ed0, v19
	v_cvt_i32_f32_e32 v37, v37
	v_exp_f32_e32 v22, v22
	v_exp_f32_e32 v23, v23
	v_fma_f32 v40, 0x3fb8aa3b, v21, -v24
	s_delay_alu instid0(TRANS32_DEP_3)
	v_ldexp_f32 v17, v17, v35
	v_cndmask_b32_e32 v16, 0, v16, vcc_lo
	v_cmp_ngt_f32_e32 vcc_lo, 0xc2ce8ed0, v9
	v_rndne_f32_e32 v49, v24
	v_cvt_i32_f32_e32 v39, v39
	v_exp_f32_e32 v25, v25
	v_cvt_i32_f32_e32 v30, v51
	v_ldexp_f32 v22, v22, v37
	v_cndmask_b32_e32 v17, 0, v17, vcc_lo
	v_cmp_ngt_f32_e32 vcc_lo, 0xc2ce8ed0, v20
	v_sub_f32_e32 v24, v24, v49
	v_ldexp_f32 v23, v23, v39
	v_cvt_i32_f32_e32 v26, v49
	v_cndmask_b32_e32 v22, 0, v22, vcc_lo
	v_cmp_ngt_f32_e32 vcc_lo, 0xc2ce8ed0, v10
	v_fmac_f32_e32 v40, 0x32a5705f, v21
	v_ldexp_f32 v25, v25, v30
	s_delay_alu instid0(VALU_DEP_2) | instskip(SKIP_1) | instid1(VALU_DEP_2)
	v_dual_cndmask_b32 v23, 0, v23 :: v_dual_add_f32 v24, v24, v40
	v_cmp_ngt_f32_e32 vcc_lo, 0xc2ce8ed0, v21
	v_exp_f32_e32 v24, v24
	s_waitcnt_depctr 0xfff
	v_ldexp_f32 v24, v24, v26
	s_delay_alu instid0(VALU_DEP_1)
	v_cndmask_b32_e32 v24, 0, v24, vcc_lo
	v_cmp_ngt_f32_e32 vcc_lo, 0xc2ce8ed0, v11
	v_cndmask_b32_e32 v25, 0, v25, vcc_lo
	v_cmp_nlt_f32_e32 vcc_lo, 0x42b17218, v18
	v_cndmask_b32_e32 v14, 0x7f800000, v14, vcc_lo
	v_cmp_nlt_f32_e32 vcc_lo, 0x42b17218, v8
	;; [unrolled: 2-line block ×3, first 2 shown]
	s_delay_alu instid0(VALU_DEP_2) | instskip(SKIP_4) | instid1(VALU_DEP_3)
	v_dual_fmac_f32 v8, v4, v14 :: v_dual_cndmask_b32 v15, 0x7f800000, v16
	v_cmp_nlt_f32_e32 vcc_lo, 0x42b17218, v9
	v_cvt_f16_f32_e32 v4, v14
	v_cndmask_b32_e32 v9, 0x7f800000, v17, vcc_lo
	v_cmp_nlt_f32_e32 vcc_lo, 0x42b17218, v20
	v_pk_mul_f16 v46, v4, v46 op_sel_hi:[0,1]
	v_pk_mul_f16 v48, v4, v48 op_sel_hi:[0,1]
	s_delay_alu instid0(VALU_DEP_4)
	v_dual_mov_b32 v4, v8 :: v_dual_fmac_f32 v9, v5, v15
	v_cndmask_b32_e32 v16, 0x7f800000, v22, vcc_lo
	v_cmp_nlt_f32_e32 vcc_lo, 0x42b17218, v10
	v_cvt_f16_f32_e32 v5, v15
	v_cndmask_b32_e32 v10, 0x7f800000, v23, vcc_lo
	v_cmp_nlt_f32_e32 vcc_lo, 0x42b17218, v21
	s_delay_alu instid0(VALU_DEP_3) | instskip(SKIP_1) | instid1(VALU_DEP_4)
	v_pk_mul_f16 v44, v5, v44 op_sel_hi:[0,1]
	v_pk_mul_f16 v47, v5, v47 op_sel_hi:[0,1]
	v_dual_mov_b32 v5, v9 :: v_dual_fmac_f32 v10, v6, v16
	v_cndmask_b32_e32 v17, 0x7f800000, v24, vcc_lo
	v_cmp_nlt_f32_e32 vcc_lo, 0x42b17218, v11
	v_cvt_f16_f32_e32 v6, v16
	v_cndmask_b32_e32 v11, 0x7f800000, v25, vcc_lo
	s_delay_alu instid0(VALU_DEP_2) | instskip(SKIP_1) | instid1(VALU_DEP_3)
	v_pk_mul_f16 v42, v6, v42 op_sel_hi:[0,1]
	v_pk_mul_f16 v45, v6, v45 op_sel_hi:[0,1]
	v_dual_mov_b32 v6, v10 :: v_dual_fmac_f32 v11, v7, v17
	v_cvt_f16_f32_e32 v7, v17
	s_delay_alu instid0(VALU_DEP_1) | instskip(SKIP_1) | instid1(VALU_DEP_4)
	v_pk_mul_f16 v43, v7, v43 op_sel_hi:[0,1]
	v_pk_mul_f16 v41, v7, v41 op_sel_hi:[0,1]
	v_mov_b32_e32 v7, v11
	s_mov_b32 s2, exec_lo
	v_cmpx_gt_i32_e64 s6, v12
	s_cbranch_execnz .LBB19_56
.LBB19_54:
	s_nop 0
	s_sendmsg sendmsg(MSG_DEALLOC_VGPRS)
	s_endpgm
.LBB19_55:
	s_delay_alu instid0(VALU_DEP_1)
	v_dual_mov_b32 v11, v7 :: v_dual_mov_b32 v10, v6
	v_dual_mov_b32 v9, v5 :: v_dual_mov_b32 v8, v4
	s_mov_b32 s2, exec_lo
	v_cmpx_gt_i32_e64 s6, v12
	s_cbranch_execz .LBB19_54
.LBB19_56:
	s_load_b32 s1, s[0:1], 0xd4
	v_mov_b32_e32 v16, 1.0
	s_waitcnt lgkmcnt(0)
	s_cmp_lg_u32 s1, 1
	s_cselect_b32 s3, -1, 0
	s_cmp_eq_u32 s1, 1
	s_cselect_b32 s2, -1, 0
	s_and_b32 vcc_lo, exec_lo, s3
	s_cbranch_vccnz .LBB19_58
; %bb.57:
	v_div_scale_f32 v14, null, v4, v4, 1.0
	s_delay_alu instid0(VALU_DEP_1) | instskip(SKIP_2) | instid1(VALU_DEP_1)
	v_rcp_f32_e32 v15, v14
	s_waitcnt_depctr 0xfff
	v_fma_f32 v16, -v14, v15, 1.0
	v_fmac_f32_e32 v15, v16, v15
	v_div_scale_f32 v16, vcc_lo, 1.0, v4, 1.0
	s_delay_alu instid0(VALU_DEP_1) | instskip(NEXT) | instid1(VALU_DEP_1)
	v_mul_f32_e32 v17, v16, v15
	v_fma_f32 v18, -v14, v17, v16
	s_delay_alu instid0(VALU_DEP_1) | instskip(NEXT) | instid1(VALU_DEP_1)
	v_fmac_f32_e32 v17, v18, v15
	v_fma_f32 v14, -v14, v17, v16
	s_delay_alu instid0(VALU_DEP_1) | instskip(NEXT) | instid1(VALU_DEP_1)
	v_div_fmas_f32 v14, v14, v15, v17
	v_div_fixup_f32 v16, v14, v4, 1.0
.LBB19_58:
	v_mad_u64_u32 v[14:15], null, s12, s6, v[12:13]
	v_cmp_eq_u32_e32 vcc_lo, 0, v13
	v_cvt_f32_f16_e32 v18, v48
	v_cvt_f32_f16_e32 v17, v46
	s_delay_alu instid0(VALU_DEP_2) | instskip(SKIP_1) | instid1(VALU_DEP_3)
	v_mul_f32_e32 v19, v16, v18
	v_mul_lo_u32 v4, v14, s7
	v_mul_f32_e32 v17, v16, v17
	s_delay_alu instid0(VALU_DEP_2) | instskip(NEXT) | instid1(VALU_DEP_1)
	v_add3_u32 v4, s15, v27, v4
	v_mad_u64_u32 v[14:15], null, s1, v4, s[14:15]
	v_lshrrev_b32_e32 v4, 16, v46
	v_lshrrev_b32_e32 v15, 16, v48
	s_delay_alu instid0(VALU_DEP_2) | instskip(SKIP_2) | instid1(VALU_DEP_4)
	v_cvt_f32_f16_e32 v4, v4
	v_mov_b32_e32 v13, 0
	v_lshl_add_u32 v12, v14, 7, v28
	v_cvt_f32_f16_e32 v15, v15
	s_delay_alu instid0(VALU_DEP_4) | instskip(NEXT) | instid1(VALU_DEP_3)
	v_mul_f32_e32 v18, v16, v4
	v_lshlrev_b64 v[12:13], 2, v[12:13]
	s_delay_alu instid0(VALU_DEP_3) | instskip(NEXT) | instid1(VALU_DEP_2)
	v_mul_f32_e32 v20, v16, v15
	v_add_co_u32 v12, s0, s28, v12
	s_delay_alu instid0(VALU_DEP_1)
	v_add_co_ci_u32_e64 v13, s0, s29, v13, s0
	s_and_b32 s0, vcc_lo, s3
	global_store_b128 v[12:13], v[17:20], off
	s_and_saveexec_b32 s3, s0
	s_cbranch_execz .LBB19_60
; %bb.59:
	v_ashrrev_i32_e32 v15, 31, v14
	v_mov_b32_e32 v16, v8
	s_delay_alu instid0(VALU_DEP_2) | instskip(SKIP_1) | instid1(VALU_DEP_2)
	v_lshlrev_b64 v[12:13], 3, v[14:15]
	v_mov_b32_e32 v15, v0
	v_add_co_u32 v12, vcc_lo, s30, v12
	s_delay_alu instid0(VALU_DEP_3)
	v_add_co_ci_u32_e32 v13, vcc_lo, s31, v13, vcc_lo
	global_store_b64 v[12:13], v[15:16], off
.LBB19_60:
	s_or_b32 exec_lo, exec_lo, s3
	v_cndmask_b32_e64 v12, 0, 1, s2
	v_mov_b32_e32 v0, 1.0
	s_and_not1_b32 vcc_lo, exec_lo, s2
	s_cbranch_vccnz .LBB19_62
; %bb.61:
	v_div_scale_f32 v0, null, v5, v5, 1.0
	s_delay_alu instid0(VALU_DEP_1) | instskip(SKIP_2) | instid1(VALU_DEP_1)
	v_rcp_f32_e32 v4, v0
	s_waitcnt_depctr 0xfff
	v_fma_f32 v8, -v0, v4, 1.0
	v_fmac_f32_e32 v4, v8, v4
	v_div_scale_f32 v8, vcc_lo, 1.0, v5, 1.0
	s_delay_alu instid0(VALU_DEP_1) | instskip(NEXT) | instid1(VALU_DEP_1)
	v_mul_f32_e32 v13, v8, v4
	v_fma_f32 v15, -v0, v13, v8
	s_delay_alu instid0(VALU_DEP_1) | instskip(NEXT) | instid1(VALU_DEP_1)
	v_fmac_f32_e32 v13, v15, v4
	v_fma_f32 v0, -v0, v13, v8
	s_delay_alu instid0(VALU_DEP_1) | instskip(NEXT) | instid1(VALU_DEP_1)
	v_div_fmas_f32 v0, v0, v4, v13
	v_div_fixup_f32 v0, v0, v5, 1.0
.LBB19_62:
	v_cvt_f32_f16_e32 v15, v44
	v_add_nc_u32_e32 v4, s1, v14
	v_cvt_f32_f16_e32 v16, v47
	v_mov_b32_e32 v14, 0
	v_lshrrev_b32_e32 v5, 16, v44
	v_lshrrev_b32_e32 v8, 16, v47
	v_lshl_add_u32 v13, v4, 7, v28
	s_delay_alu instid0(VALU_DEP_3) | instskip(NEXT) | instid1(VALU_DEP_3)
	v_cvt_f32_f16_e32 v5, v5
	v_cvt_f32_f16_e32 v8, v8
	s_delay_alu instid0(VALU_DEP_3)
	v_lshlrev_b64 v[17:18], 2, v[13:14]
	v_mul_f32_e32 v13, v0, v15
	v_mul_f32_e32 v15, v0, v16
	;; [unrolled: 1-line block ×4, first 2 shown]
	v_add_co_u32 v17, vcc_lo, s28, v17
	v_add_co_ci_u32_e32 v18, vcc_lo, s29, v18, vcc_lo
	global_store_b128 v[17:18], v[13:16], off
	s_and_saveexec_b32 s2, s0
	s_cbranch_execz .LBB19_64
; %bb.63:
	v_ashrrev_i32_e32 v5, 31, v4
	v_mov_b32_e32 v8, v1
	s_delay_alu instid0(VALU_DEP_2) | instskip(NEXT) | instid1(VALU_DEP_1)
	v_lshlrev_b64 v[13:14], 3, v[4:5]
	v_add_co_u32 v13, vcc_lo, s30, v13
	s_delay_alu instid0(VALU_DEP_2)
	v_add_co_ci_u32_e32 v14, vcc_lo, s31, v14, vcc_lo
	global_store_b64 v[13:14], v[8:9], off
.LBB19_64:
	s_or_b32 exec_lo, exec_lo, s2
	v_cmp_ne_u32_e32 vcc_lo, 1, v12
	v_mov_b32_e32 v1, 1.0
	s_cbranch_vccnz .LBB19_66
; %bb.65:
	v_div_scale_f32 v0, null, v6, v6, 1.0
	s_delay_alu instid0(VALU_DEP_1) | instskip(SKIP_2) | instid1(VALU_DEP_1)
	v_rcp_f32_e32 v1, v0
	s_waitcnt_depctr 0xfff
	v_fma_f32 v5, -v0, v1, 1.0
	v_fmac_f32_e32 v1, v5, v1
	v_div_scale_f32 v5, vcc_lo, 1.0, v6, 1.0
	s_delay_alu instid0(VALU_DEP_1) | instskip(NEXT) | instid1(VALU_DEP_1)
	v_mul_f32_e32 v8, v5, v1
	v_fma_f32 v9, -v0, v8, v5
	s_delay_alu instid0(VALU_DEP_1) | instskip(NEXT) | instid1(VALU_DEP_1)
	v_fmac_f32_e32 v8, v9, v1
	v_fma_f32 v0, -v0, v8, v5
	s_delay_alu instid0(VALU_DEP_1) | instskip(NEXT) | instid1(VALU_DEP_1)
	v_div_fmas_f32 v0, v0, v1, v8
	v_div_fixup_f32 v1, v0, v6, 1.0
.LBB19_66:
	v_dual_mov_b32 v5, 0 :: v_dual_add_nc_u32 v0, s1, v4
	v_lshrrev_b32_e32 v6, 16, v42
	v_lshrrev_b32_e32 v8, 16, v45
	v_cvt_f32_f16_e32 v9, v42
	s_delay_alu instid0(VALU_DEP_4)
	v_lshl_add_u32 v4, v0, 7, v28
	v_cvt_f32_f16_e32 v14, v45
	v_cvt_f32_f16_e32 v6, v6
	;; [unrolled: 1-line block ×3, first 2 shown]
	v_mul_f32_e32 v13, v1, v9
	v_lshlrev_b64 v[4:5], 2, v[4:5]
	v_mul_f32_e32 v15, v1, v14
	v_mul_f32_e32 v14, v1, v6
	;; [unrolled: 1-line block ×3, first 2 shown]
	s_delay_alu instid0(VALU_DEP_4)
	v_add_co_u32 v4, vcc_lo, s28, v4
	v_add_co_ci_u32_e32 v5, vcc_lo, s29, v5, vcc_lo
	global_store_b128 v[4:5], v[13:16], off
	s_and_saveexec_b32 s2, s0
	s_cbranch_execz .LBB19_68
; %bb.67:
	v_ashrrev_i32_e32 v1, 31, v0
	v_mov_b32_e32 v9, v2
	s_delay_alu instid0(VALU_DEP_2) | instskip(NEXT) | instid1(VALU_DEP_1)
	v_lshlrev_b64 v[4:5], 3, v[0:1]
	v_add_co_u32 v4, vcc_lo, s30, v4
	s_delay_alu instid0(VALU_DEP_2)
	v_add_co_ci_u32_e32 v5, vcc_lo, s31, v5, vcc_lo
	global_store_b64 v[4:5], v[9:10], off
.LBB19_68:
	s_or_b32 exec_lo, exec_lo, s2
	v_cmp_ne_u32_e32 vcc_lo, 1, v12
	v_mov_b32_e32 v1, 1.0
	s_cbranch_vccnz .LBB19_70
; %bb.69:
	v_div_scale_f32 v1, null, v7, v7, 1.0
	s_delay_alu instid0(VALU_DEP_1) | instskip(SKIP_2) | instid1(VALU_DEP_1)
	v_rcp_f32_e32 v2, v1
	s_waitcnt_depctr 0xfff
	v_fma_f32 v4, -v1, v2, 1.0
	v_fmac_f32_e32 v2, v4, v2
	v_div_scale_f32 v4, vcc_lo, 1.0, v7, 1.0
	s_delay_alu instid0(VALU_DEP_1) | instskip(NEXT) | instid1(VALU_DEP_1)
	v_mul_f32_e32 v5, v4, v2
	v_fma_f32 v6, -v1, v5, v4
	s_delay_alu instid0(VALU_DEP_1) | instskip(NEXT) | instid1(VALU_DEP_1)
	v_fmac_f32_e32 v5, v6, v2
	v_fma_f32 v1, -v1, v5, v4
	s_delay_alu instid0(VALU_DEP_1) | instskip(NEXT) | instid1(VALU_DEP_1)
	v_div_fmas_f32 v1, v1, v2, v5
	v_div_fixup_f32 v1, v1, v7, 1.0
.LBB19_70:
	v_dual_mov_b32 v5, 0 :: v_dual_add_nc_u32 v0, s1, v0
	v_lshrrev_b32_e32 v2, 16, v43
	v_lshrrev_b32_e32 v6, 16, v41
	v_cvt_f32_f16_e32 v7, v43
	s_delay_alu instid0(VALU_DEP_4) | instskip(SKIP_3) | instid1(VALU_DEP_4)
	v_lshl_add_u32 v4, v0, 7, v28
	v_cvt_f32_f16_e32 v10, v41
	v_cvt_f32_f16_e32 v2, v2
	v_cvt_f32_f16_e32 v12, v6
	v_lshlrev_b64 v[8:9], 2, v[4:5]
	v_mul_f32_e32 v4, v1, v7
	v_mul_f32_e32 v6, v1, v10
	;; [unrolled: 1-line block ×4, first 2 shown]
	v_add_co_u32 v1, vcc_lo, s28, v8
	v_add_co_ci_u32_e32 v2, vcc_lo, s29, v9, vcc_lo
	global_store_b128 v[1:2], v[4:7], off
	s_and_b32 exec_lo, exec_lo, s0
	s_cbranch_execz .LBB19_54
; %bb.71:
	v_ashrrev_i32_e32 v1, 31, v0
	v_mov_b32_e32 v10, v3
	s_delay_alu instid0(VALU_DEP_2) | instskip(NEXT) | instid1(VALU_DEP_1)
	v_lshlrev_b64 v[0:1], 3, v[0:1]
	v_add_co_u32 v0, vcc_lo, s30, v0
	s_delay_alu instid0(VALU_DEP_2)
	v_add_co_ci_u32_e32 v1, vcc_lo, s31, v1, vcc_lo
	global_store_b64 v[0:1], v[10:11], off
	s_nop 0
	s_sendmsg sendmsg(MSG_DEALLOC_VGPRS)
	s_endpgm
	.section	.rodata,"a",@progbits
	.p2align	6, 0x0
	.amdhsa_kernel _ZL15flash_attn_tileILi192ELi128ELi2ELi16ELb1EEvPKcS1_S1_S1_S1_PKiPfP15HIP_vector_typeIfLj2EEffffjfiS5_IjLj3EEiiiiiiiiiiiliiliiiiil
		.amdhsa_group_segment_fixed_size 25600
		.amdhsa_private_segment_fixed_size 0
		.amdhsa_kernarg_size 464
		.amdhsa_user_sgpr_count 13
		.amdhsa_user_sgpr_dispatch_ptr 0
		.amdhsa_user_sgpr_queue_ptr 0
		.amdhsa_user_sgpr_kernarg_segment_ptr 1
		.amdhsa_user_sgpr_dispatch_id 0
		.amdhsa_user_sgpr_private_segment_size 0
		.amdhsa_wavefront_size32 1
		.amdhsa_uses_dynamic_stack 0
		.amdhsa_enable_private_segment 0
		.amdhsa_system_sgpr_workgroup_id_x 1
		.amdhsa_system_sgpr_workgroup_id_y 1
		.amdhsa_system_sgpr_workgroup_id_z 1
		.amdhsa_system_sgpr_workgroup_info 0
		.amdhsa_system_vgpr_workitem_id 1
		.amdhsa_next_free_vgpr 187
		.amdhsa_next_free_sgpr 40
		.amdhsa_reserve_vcc 1
		.amdhsa_float_round_mode_32 0
		.amdhsa_float_round_mode_16_64 0
		.amdhsa_float_denorm_mode_32 3
		.amdhsa_float_denorm_mode_16_64 3
		.amdhsa_dx10_clamp 1
		.amdhsa_ieee_mode 1
		.amdhsa_fp16_overflow 0
		.amdhsa_workgroup_processor_mode 1
		.amdhsa_memory_ordered 1
		.amdhsa_forward_progress 0
		.amdhsa_shared_vgpr_count 0
		.amdhsa_exception_fp_ieee_invalid_op 0
		.amdhsa_exception_fp_denorm_src 0
		.amdhsa_exception_fp_ieee_div_zero 0
		.amdhsa_exception_fp_ieee_overflow 0
		.amdhsa_exception_fp_ieee_underflow 0
		.amdhsa_exception_fp_ieee_inexact 0
		.amdhsa_exception_int_div_zero 0
	.end_amdhsa_kernel
	.section	.text._ZL15flash_attn_tileILi192ELi128ELi2ELi16ELb1EEvPKcS1_S1_S1_S1_PKiPfP15HIP_vector_typeIfLj2EEffffjfiS5_IjLj3EEiiiiiiiiiiiliiliiiiil,"axG",@progbits,_ZL15flash_attn_tileILi192ELi128ELi2ELi16ELb1EEvPKcS1_S1_S1_S1_PKiPfP15HIP_vector_typeIfLj2EEffffjfiS5_IjLj3EEiiiiiiiiiiiliiliiiiil,comdat
.Lfunc_end19:
	.size	_ZL15flash_attn_tileILi192ELi128ELi2ELi16ELb1EEvPKcS1_S1_S1_S1_PKiPfP15HIP_vector_typeIfLj2EEffffjfiS5_IjLj3EEiiiiiiiiiiiliiliiiiil, .Lfunc_end19-_ZL15flash_attn_tileILi192ELi128ELi2ELi16ELb1EEvPKcS1_S1_S1_S1_PKiPfP15HIP_vector_typeIfLj2EEffffjfiS5_IjLj3EEiiiiiiiiiiiliiliiiiil
                                        ; -- End function
	.section	.AMDGPU.csdata,"",@progbits
; Kernel info:
; codeLenInByte = 31416
; NumSgprs: 42
; NumVgprs: 187
; ScratchSize: 0
; MemoryBound: 0
; FloatMode: 240
; IeeeMode: 1
; LDSByteSize: 25600 bytes/workgroup (compile time only)
; SGPRBlocks: 5
; VGPRBlocks: 23
; NumSGPRsForWavesPerEU: 42
; NumVGPRsForWavesPerEU: 187
; Occupancy: 8
; WaveLimiterHint : 1
; COMPUTE_PGM_RSRC2:SCRATCH_EN: 0
; COMPUTE_PGM_RSRC2:USER_SGPR: 13
; COMPUTE_PGM_RSRC2:TRAP_HANDLER: 0
; COMPUTE_PGM_RSRC2:TGID_X_EN: 1
; COMPUTE_PGM_RSRC2:TGID_Y_EN: 1
; COMPUTE_PGM_RSRC2:TGID_Z_EN: 1
; COMPUTE_PGM_RSRC2:TIDIG_COMP_CNT: 1
	.section	.text._ZL15flash_attn_tileILi192ELi128ELi1ELi16ELb1EEvPKcS1_S1_S1_S1_PKiPfP15HIP_vector_typeIfLj2EEffffjfiS5_IjLj3EEiiiiiiiiiiiliiliiiiil,"axG",@progbits,_ZL15flash_attn_tileILi192ELi128ELi1ELi16ELb1EEvPKcS1_S1_S1_S1_PKiPfP15HIP_vector_typeIfLj2EEffffjfiS5_IjLj3EEiiiiiiiiiiiliiliiiiil,comdat
	.globl	_ZL15flash_attn_tileILi192ELi128ELi1ELi16ELb1EEvPKcS1_S1_S1_S1_PKiPfP15HIP_vector_typeIfLj2EEffffjfiS5_IjLj3EEiiiiiiiiiiiliiliiiiil ; -- Begin function _ZL15flash_attn_tileILi192ELi128ELi1ELi16ELb1EEvPKcS1_S1_S1_S1_PKiPfP15HIP_vector_typeIfLj2EEffffjfiS5_IjLj3EEiiiiiiiiiiiliiliiiiil
	.p2align	8
	.type	_ZL15flash_attn_tileILi192ELi128ELi1ELi16ELb1EEvPKcS1_S1_S1_S1_PKiPfP15HIP_vector_typeIfLj2EEffffjfiS5_IjLj3EEiiiiiiiiiiiliiliiiiil,@function
_ZL15flash_attn_tileILi192ELi128ELi1ELi16ELb1EEvPKcS1_S1_S1_S1_PKiPfP15HIP_vector_typeIfLj2EEffffjfiS5_IjLj3EEiiiiiiiiiiiliiliiiiil: ; @_ZL15flash_attn_tileILi192ELi128ELi1ELi16ELb1EEvPKcS1_S1_S1_S1_PKiPfP15HIP_vector_typeIfLj2EEffffjfiS5_IjLj3EEiiiiiiiiiiiliiliiiiil
; %bb.0:
	s_clause 0x1
	s_load_b128 s[4:7], s[0:1], 0x5c
	s_load_b64 s[34:35], s[0:1], 0x80
	s_mov_b64 s[36:37], 0
	s_waitcnt lgkmcnt(0)
	s_ashr_i32 s2, s7, 31
	s_delay_alu instid0(SALU_CYCLE_1) | instskip(NEXT) | instid1(SALU_CYCLE_1)
	s_lshr_b32 s2, s2, 28
	s_add_i32 s2, s7, s2
	s_delay_alu instid0(SALU_CYCLE_1) | instskip(NEXT) | instid1(SALU_CYCLE_1)
	s_ashr_i32 s2, s2, 4
	v_cvt_f32_u32_e32 v1, s2
	s_sub_i32 s8, 0, s2
	s_delay_alu instid0(VALU_DEP_1) | instskip(SKIP_2) | instid1(VALU_DEP_1)
	v_rcp_iflag_f32_e32 v1, v1
	s_waitcnt_depctr 0xfff
	v_mul_f32_e32 v1, 0x4f7ffffe, v1
	v_cvt_u32_f32_e32 v1, v1
	s_delay_alu instid0(VALU_DEP_1) | instskip(NEXT) | instid1(VALU_DEP_1)
	v_readfirstlane_b32 s3, v1
	s_mul_i32 s8, s8, s3
	s_delay_alu instid0(SALU_CYCLE_1) | instskip(NEXT) | instid1(SALU_CYCLE_1)
	s_mul_hi_u32 s8, s3, s8
	s_add_i32 s3, s3, s8
	s_delay_alu instid0(SALU_CYCLE_1) | instskip(NEXT) | instid1(SALU_CYCLE_1)
	s_mul_hi_u32 s3, s15, s3
	s_mul_i32 s8, s3, s2
	s_add_i32 s9, s3, 1
	s_sub_i32 s8, s15, s8
	s_delay_alu instid0(SALU_CYCLE_1)
	s_sub_i32 s10, s8, s2
	s_cmp_ge_u32 s8, s2
	s_cselect_b32 s3, s9, s3
	s_cselect_b32 s8, s10, s8
	s_add_i32 s9, s3, 1
	s_cmp_ge_u32 s8, s2
	s_cselect_b32 s12, s9, s3
	s_abs_i32 s2, s35
	s_abs_i32 s11, s7
	v_cvt_f32_u32_e32 v1, s2
	s_sub_i32 s8, 0, s2
	s_lshl_b32 s9, s15, 4
	s_mul_i32 s10, s12, s7
	s_delay_alu instid0(VALU_DEP_1) | instskip(SKIP_3) | instid1(VALU_DEP_1)
	v_rcp_iflag_f32_e32 v1, v1
	s_sub_i32 s15, s9, s10
	s_waitcnt_depctr 0xfff
	v_mul_f32_e32 v1, 0x4f7ffffe, v1
	v_cvt_u32_f32_e32 v1, v1
	s_delay_alu instid0(VALU_DEP_1) | instskip(NEXT) | instid1(VALU_DEP_1)
	v_readfirstlane_b32 s3, v1
	s_mul_i32 s8, s8, s3
	s_delay_alu instid0(SALU_CYCLE_1) | instskip(NEXT) | instid1(SALU_CYCLE_1)
	s_mul_hi_u32 s8, s3, s8
	s_add_i32 s3, s3, s8
	s_xor_b32 s8, s7, s35
	s_mul_hi_u32 s3, s11, s3
	s_ashr_i32 s8, s8, 31
	s_mul_i32 s9, s3, s2
	s_add_i32 s10, s3, 1
	s_sub_i32 s9, s11, s9
	s_delay_alu instid0(SALU_CYCLE_1)
	s_sub_i32 s11, s9, s2
	s_cmp_ge_u32 s9, s2
	s_cselect_b32 s3, s10, s3
	s_cselect_b32 s9, s11, s9
	s_add_i32 s10, s3, 1
	s_cmp_ge_u32 s9, s2
	s_cselect_b32 s2, s10, s3
	s_delay_alu instid0(SALU_CYCLE_1) | instskip(NEXT) | instid1(SALU_CYCLE_1)
	s_xor_b32 s2, s2, s8
	s_sub_i32 s35, s2, s8
	s_clause 0x1
	s_load_b512 s[16:31], s[0:1], 0x0
	s_load_b64 s[2:3], s[0:1], 0xb8
	s_abs_i32 s33, s35
	s_delay_alu instid0(SALU_CYCLE_1) | instskip(NEXT) | instid1(VALU_DEP_1)
	v_cvt_f32_u32_e32 v1, s33
	v_rcp_iflag_f32_e32 v1, v1
	s_waitcnt_depctr 0xfff
	v_mul_f32_e32 v1, 0x4f7ffffe, v1
	s_waitcnt lgkmcnt(0)
	s_cmp_eq_u64 s[22:23], 0
	s_delay_alu instid0(VALU_DEP_1) | instskip(NEXT) | instid1(VALU_DEP_1)
	v_cvt_u32_f32_e32 v1, v1
	v_readfirstlane_b32 s38, v1
	s_cbranch_scc1 .LBB20_2
; %bb.1:
	s_abs_i32 s2, s2
	s_abs_i32 s10, s12
	v_cvt_f32_u32_e32 v1, s2
	s_sub_i32 s9, 0, s2
	s_delay_alu instid0(VALU_DEP_1) | instskip(SKIP_2) | instid1(VALU_DEP_1)
	v_rcp_iflag_f32_e32 v1, v1
	s_waitcnt_depctr 0xfff
	v_mul_f32_e32 v1, 0x4f7ffffe, v1
	v_cvt_u32_f32_e32 v1, v1
	s_delay_alu instid0(VALU_DEP_1) | instskip(NEXT) | instid1(VALU_DEP_1)
	v_readfirstlane_b32 s8, v1
	s_mul_i32 s9, s9, s8
	s_delay_alu instid0(SALU_CYCLE_1) | instskip(NEXT) | instid1(SALU_CYCLE_1)
	s_mul_hi_u32 s9, s8, s9
	s_add_i32 s11, s8, s9
	s_load_b64 s[8:9], s[0:1], 0xc8
	s_mul_hi_u32 s11, s10, s11
	s_delay_alu instid0(SALU_CYCLE_1) | instskip(NEXT) | instid1(SALU_CYCLE_1)
	s_mul_i32 s11, s11, s2
	s_sub_i32 s10, s10, s11
	s_ashr_i32 s11, s12, 31
	s_sub_i32 s36, s10, s2
	s_cmp_ge_u32 s10, s2
	s_cselect_b32 s10, s36, s10
	s_delay_alu instid0(SALU_CYCLE_1) | instskip(SKIP_2) | instid1(SALU_CYCLE_1)
	s_sub_i32 s36, s10, s2
	s_cmp_ge_u32 s10, s2
	s_cselect_b32 s2, s36, s10
	s_xor_b32 s2, s2, s11
	s_delay_alu instid0(SALU_CYCLE_1)
	s_sub_i32 s2, s2, s11
	s_waitcnt lgkmcnt(0)
	s_mul_i32 s9, s2, s9
	s_mul_hi_u32 s10, s2, s8
	s_ashr_i32 s11, s2, 31
	s_add_i32 s9, s10, s9
	s_mul_i32 s11, s11, s8
	s_mul_i32 s2, s2, s8
	s_add_i32 s9, s9, s11
	s_add_u32 s36, s22, s2
	s_addc_u32 s37, s23, s9
.LBB20_2:
	v_bfe_u32 v19, v0, 10, 10
	s_load_b128 s[8:11], s[0:1], 0x70
	s_delay_alu instid0(VALU_DEP_1) | instskip(SKIP_1) | instid1(VALU_DEP_2)
	v_lshrrev_b32_e32 v1, 3, v19
	v_lshlrev_b32_e32 v9, 1, v19
	v_add_nc_u32_e32 v1, s13, v1
	s_delay_alu instid0(VALU_DEP_2) | instskip(NEXT) | instid1(VALU_DEP_2)
	v_and_b32_e32 v7, 14, v9
	v_mul_hi_u32 v2, s4, v1
	s_waitcnt lgkmcnt(0)
	s_mul_i32 s2, s12, s10
	s_mul_i32 s4, s15, s9
	s_delay_alu instid0(VALU_DEP_1) | instskip(NEXT) | instid1(VALU_DEP_1)
	v_add_nc_u32_e32 v2, v1, v2
	v_lshrrev_b32_e32 v2, s5, v2
	s_ashr_i32 s5, s2, 31
	s_add_u32 s2, s16, s2
	s_addc_u32 s5, s17, s5
	s_ashr_i32 s10, s4, 31
	v_mul_lo_u32 v2, v2, s6
	s_add_u32 s2, s2, s4
	s_addc_u32 s4, s5, s10
	s_ashr_i32 s10, s8, 31
	s_ashr_i32 s5, s9, 31
	v_alignbit_b32 v4, s10, s8, 2
	v_alignbit_b32 v6, s5, s9, 2
	s_lshr_b32 s8, s10, 2
	v_sub_nc_u32_e32 v20, v1, v2
	s_delay_alu instid0(VALU_DEP_1) | instskip(NEXT) | instid1(VALU_DEP_3)
	v_mad_u64_u32 v[2:3], null, v4, v20, 0
	v_mad_u64_u32 v[4:5], null, v6, v7, 0
	s_delay_alu instid0(VALU_DEP_1) | instskip(SKIP_1) | instid1(VALU_DEP_1)
	v_mad_u64_u32 v[10:11], null, s8, v20, v[3:4]
	s_lshr_b32 s8, s5, 2
	v_mov_b32_e32 v3, v10
	s_delay_alu instid0(VALU_DEP_3) | instskip(SKIP_2) | instid1(VALU_DEP_3)
	v_mad_u64_u32 v[10:11], null, s8, v7, v[5:6]
	v_and_b32_e32 v0, 0x3ff, v0
	s_load_b32 s8, s[0:1], 0x40
	v_lshlrev_b64 v[2:3], 2, v[2:3]
	s_delay_alu instid0(VALU_DEP_2) | instskip(NEXT) | instid1(VALU_DEP_2)
	v_dual_mov_b32 v5, v10 :: v_dual_lshlrev_b32 v6, 4, v0
	v_add_co_u32 v8, vcc_lo, s2, v2
	s_delay_alu instid0(VALU_DEP_3) | instskip(NEXT) | instid1(VALU_DEP_3)
	v_add_co_ci_u32_e32 v10, vcc_lo, s4, v3, vcc_lo
	v_lshlrev_b64 v[2:3], 2, v[4:5]
	s_delay_alu instid0(VALU_DEP_3) | instskip(NEXT) | instid1(VALU_DEP_3)
	v_add_co_u32 v4, vcc_lo, v8, v6
	v_add_co_ci_u32_e32 v5, vcc_lo, 0, v10, vcc_lo
	v_lshlrev_b32_e32 v24, 1, v0
	s_delay_alu instid0(VALU_DEP_3) | instskip(NEXT) | instid1(VALU_DEP_3)
	v_add_co_u32 v2, vcc_lo, v4, v2
	v_add_co_ci_u32_e32 v3, vcc_lo, v5, v3, vcc_lo
	v_mul_u32_u24_e32 v6, 0xc0, v19
	v_cmp_gt_u32_e32 vcc_lo, 16, v0
	s_mov_b32 s4, s9
	global_load_b128 v[10:13], v[2:3], off
	s_lshr_b64 s[4:5], s[4:5], 2
	v_add_lshl_u32 v6, v6, v24, 2
	s_waitcnt vmcnt(0) lgkmcnt(0)
	v_fma_mixlo_f16 v15, v12, s8, 0
	v_fma_mixlo_f16 v14, v10, s8, 0
	s_delay_alu instid0(VALU_DEP_2) | instskip(NEXT) | instid1(VALU_DEP_2)
	v_fma_mixhi_f16 v15, v13, s8, 0
	v_fma_mixhi_f16 v14, v11, s8, 0
	ds_store_b64 v6, v[14:15]
	s_and_saveexec_b32 s2, vcc_lo
	s_cbranch_execz .LBB20_4
; %bb.3:
	global_load_b128 v[10:13], v[2:3], off offset:512
	s_waitcnt vmcnt(0)
	v_fma_mixlo_f16 v3, v12, s8, 0
	v_fma_mixlo_f16 v2, v10, s8, 0
	s_delay_alu instid0(VALU_DEP_2) | instskip(NEXT) | instid1(VALU_DEP_2)
	v_fma_mixhi_f16 v3, v13, s8, 0
	v_fma_mixhi_f16 v2, v11, s8, 0
	ds_store_b64 v6, v[2:3] offset:256
.LBB20_4:
	s_or_b32 exec_lo, exec_lo, s2
	v_or_b32_e32 v6, 1, v9
	s_delay_alu instid0(VALU_DEP_1) | instskip(NEXT) | instid1(VALU_DEP_1)
	v_and_b32_e32 v8, 15, v6
	v_mad_u64_u32 v[2:3], null, s4, v8, 0
	s_delay_alu instid0(VALU_DEP_1) | instskip(NEXT) | instid1(VALU_DEP_1)
	v_mad_u64_u32 v[10:11], null, s5, v8, v[3:4]
	v_mov_b32_e32 v3, v10
	s_delay_alu instid0(VALU_DEP_1) | instskip(NEXT) | instid1(VALU_DEP_1)
	v_lshlrev_b64 v[2:3], 2, v[2:3]
	v_add_co_u32 v2, s2, v4, v2
	s_delay_alu instid0(VALU_DEP_1)
	v_add_co_ci_u32_e64 v3, s2, v5, v3, s2
	v_mul_u32_u24_e32 v4, 0x60, v6
	global_load_b128 v[10:13], v[2:3], off
	v_add_lshl_u32 v4, v4, v24, 2
	s_waitcnt vmcnt(0)
	v_fma_mixlo_f16 v6, v12, s8, 0
	v_fma_mixlo_f16 v5, v10, s8, 0
	s_delay_alu instid0(VALU_DEP_2) | instskip(NEXT) | instid1(VALU_DEP_2)
	v_fma_mixhi_f16 v6, v13, s8, 0
	v_fma_mixhi_f16 v5, v11, s8, 0
	ds_store_b64 v4, v[5:6]
	s_and_saveexec_b32 s2, vcc_lo
	s_cbranch_execz .LBB20_6
; %bb.5:
	global_load_b128 v[10:13], v[2:3], off offset:512
	s_waitcnt vmcnt(0)
	v_fma_mixlo_f16 v3, v12, s8, 0
	v_fma_mixlo_f16 v2, v10, s8, 0
	s_delay_alu instid0(VALU_DEP_2) | instskip(NEXT) | instid1(VALU_DEP_2)
	v_fma_mixhi_f16 v3, v13, s8, 0
	v_fma_mixhi_f16 v2, v11, s8, 0
	ds_store_b64 v4, v[2:3] offset:256
.LBB20_6:
	s_or_b32 exec_lo, exec_lo, s2
	s_cmp_eq_u64 s[26:27], 0
	s_waitcnt lgkmcnt(0)
	s_barrier
	buffer_gl0_inv
	s_cbranch_scc1 .LBB20_8
; %bb.7:
	s_load_b32 s2, s[0:1], 0xd0
	s_mov_b32 s5, 0
	s_waitcnt lgkmcnt(0)
	s_mul_i32 s2, s2, s12
	s_delay_alu instid0(SALU_CYCLE_1) | instskip(NEXT) | instid1(SALU_CYCLE_1)
	s_add_i32 s4, s2, s13
	s_lshl_b64 s[4:5], s[4:5], 2
	s_delay_alu instid0(SALU_CYCLE_1)
	s_add_u32 s4, s26, s4
	s_addc_u32 s5, s27, s5
	s_load_b32 s34, s[4:5], 0x0
.LBB20_8:
	v_mbcnt_lo_u32_b32 v5, -1, 0
	s_lshl_b32 s4, s14, 5
	s_waitcnt lgkmcnt(0)
	s_cmp_lt_i32 s4, s34
	s_cbranch_scc1 .LBB20_10
; %bb.9:
	v_mbcnt_lo_u32_b32 v2, -1, 0
	v_mov_b32_e32 v6, 32
	s_mov_b32 s2, 0
	s_mov_b32 s5, 0xfeffffff
	s_delay_alu instid0(VALU_DEP_2)
	v_xor_b32_e32 v33, 16, v2
	v_xor_b32_e32 v29, 8, v2
	;; [unrolled: 1-line block ×5, first 2 shown]
	s_branch .LBB20_11
.LBB20_10:
	s_mov_b32 s2, -1
                                        ; implicit-def: $sgpr5
                                        ; implicit-def: $vgpr2
                                        ; implicit-def: $vgpr6
                                        ; implicit-def: $vgpr33
                                        ; implicit-def: $vgpr29
                                        ; implicit-def: $vgpr30
                                        ; implicit-def: $vgpr31
                                        ; implicit-def: $vgpr32
.LBB20_11:
	s_delay_alu instid0(SALU_CYCLE_1) | instskip(SKIP_3) | instid1(VALU_DEP_4)
	v_cndmask_b32_e64 v3, 0, 1, s2
	v_dual_mov_b32 v4, s5 :: v_dual_lshlrev_b32 v11, 2, v0
	v_mov_b32_e32 v28, s2
	v_dual_mov_b32 v14, s2 :: v_dual_mov_b32 v15, s2
	v_cmp_ne_u32_e32 vcc_lo, 1, v3
	v_dual_mov_b32 v3, s5 :: v_dual_mov_b32 v8, s2
	v_dual_mov_b32 v13, s2 :: v_dual_mov_b32 v12, s2
	s_cbranch_vccnz .LBB20_24
; %bb.12:
	s_clause 0x1
	s_load_b128 s[8:11], s[0:1], 0x98
	s_load_b64 s[16:17], s[0:1], 0x8c
	s_sub_i32 s2, 0, s33
	v_lshrrev_b32_e32 v2, 3, v0
	s_mul_i32 s2, s2, s38
	s_abs_i32 s13, s15
	s_mul_hi_u32 s2, s38, s2
	s_ashr_i32 s23, s35, 31
	s_add_i32 s38, s38, s2
	s_ashr_i32 s35, s12, 31
	s_mul_hi_u32 s27, s13, s38
	v_lshl_add_u32 v4, v19, 2, v2
	s_ashr_i32 s22, s15, 31
	s_ashr_i32 s26, s3, 1
	s_mul_i32 s38, s27, s33
	s_load_b64 s[2:3], s[0:1], 0xa8
	v_lshrrev_b32_e32 v6, 4, v0
	v_dual_mov_b32 v15, 0 :: v_dual_and_b32 v8, 28, v11
	v_mov_b32_e32 v27, 0xfeffffff
	s_waitcnt lgkmcnt(0)
	s_ashr_i32 s5, s10, 2
	s_ashr_i32 s10, s16, 2
	s_mul_i32 s9, s12, s9
	s_mul_hi_u32 s16, s12, s8
	s_mul_i32 s39, s35, s8
	s_add_i32 s9, s16, s9
	s_mul_i32 s8, s12, s8
	s_add_i32 s9, s9, s39
	s_add_u32 s16, s18, s8
	s_addc_u32 s9, s19, s9
	s_sub_i32 s8, s13, s38
	s_xor_b32 s18, s22, s23
	s_add_i32 s13, s27, 1
	s_sub_i32 s19, s8, s33
	v_mul_lo_u32 v2, s10, v4
	s_cmp_ge_u32 s8, s33
	v_add_nc_u32_e32 v6, v9, v6
	s_cselect_b32 s13, s13, s27
	s_cselect_b32 s8, s19, s8
	s_add_i32 s19, s13, 1
	s_cmp_ge_u32 s8, s33
	v_mul_lo_u32 v12, s5, v6
	s_cselect_b32 s13, s19, s13
	v_ashrrev_i32_e32 v3, 31, v2
	s_xor_b32 s13, s13, s18
	v_lshlrev_b32_e32 v8, 2, v8
	s_sub_i32 s13, s13, s18
	v_mul_u32_u24_e32 v4, 0x90, v4
	v_lshlrev_b64 v[2:3], 2, v[2:3]
	s_mul_i32 s17, s13, s17
	v_ashrrev_i32_e32 v13, 31, v12
	s_ashr_i32 s19, s17, 31
	s_add_u32 s16, s16, s17
	s_addc_u32 s9, s9, s19
	v_add_co_u32 v2, vcc_lo, s16, v2
	v_add_co_ci_u32_e32 v3, vcc_lo, s9, v3, vcc_lo
	s_load_b32 s8, s[0:1], 0x54
	s_delay_alu instid0(VALU_DEP_2)
	v_add_co_u32 v10, vcc_lo, v2, v8
	v_dual_mov_b32 v25, 0 :: v_dual_and_b32 v2, 60, v11
	s_mul_i32 s3, s12, s3
	s_mul_hi_u32 s18, s12, s2
	s_mul_i32 s35, s35, s2
	s_add_i32 s3, s18, s3
	s_mul_i32 s2, s12, s2
	v_lshlrev_b64 v[12:13], 2, v[12:13]
	s_add_i32 s3, s3, s35
	s_mul_i32 s13, s13, s11
	v_add3_u32 v9, v4, v8, 0x1800
	v_lshlrev_b32_e32 v4, 2, v2
	s_add_u32 s2, s20, s2
	s_addc_u32 s3, s21, s3
	s_ashr_i32 s11, s13, 31
	s_add_u32 s2, s2, s13
	v_add_co_ci_u32_e32 v16, vcc_lo, 0, v3, vcc_lo
	v_mad_u64_u32 v[2:3], null, v20, s26, v[0:1]
	s_addc_u32 s3, s3, s11
	v_lshl_or_b32 v3, v6, 8, v4
	v_add_co_u32 v6, vcc_lo, s2, v12
	v_mul_u32_u24_e32 v18, 0x300, v19
	v_lshl_add_u32 v19, v19, 7, 0x2a00
	v_add_co_ci_u32_e32 v8, vcc_lo, s3, v13, vcc_lo
	s_movk_i32 s11, 0x1800
	v_add_co_u32 v22, vcc_lo, v6, v4
	v_mad_u32_u24 v17, 0x90, v0, s11
	v_lshl_add_u32 v20, v24, 1, v19
	v_add_nc_u32_e32 v21, 0x1800, v3
	v_add_co_ci_u32_e32 v23, vcc_lo, 0, v8, vcc_lo
	v_mov_b32_e32 v8, 0
	v_lshl_add_u32 v24, v24, 2, 0x1800
	v_dual_mov_b32 v13, 0 :: v_dual_mov_b32 v26, 0xfeffffff
	v_mov_b32_e32 v6, 32
	v_mov_b32_e32 v12, 0
	;; [unrolled: 1-line block ×3, first 2 shown]
	s_add_u32 s2, s0, 0xd0
	s_addc_u32 s3, s1, 0
	s_mov_b32 s9, 0xbbbac73d
.LBB20_13:                              ; =>This Inner Loop Header: Depth=1
	s_mul_hi_i32 s17, s4, s10
	s_mul_i32 s16, s4, s10
	s_delay_alu instid0(SALU_CYCLE_1) | instskip(NEXT) | instid1(SALU_CYCLE_1)
	s_lshl_b64 s[16:17], s[16:17], 2
	v_add_co_u32 v3, vcc_lo, v10, s16
	v_add_co_ci_u32_e32 v4, vcc_lo, s17, v16, vcc_lo
	global_load_b128 v[28:31], v[3:4], off
	s_waitcnt vmcnt(0)
	ds_store_b128 v9, v[28:31]
	s_waitcnt lgkmcnt(0)
	s_barrier
	buffer_gl0_inv
	ds_load_b128 v[30:33], v17
	ds_load_b128 v[34:37], v18
	ds_load_b128 v[38:41], v18 offset:384
	v_dual_mov_b32 v29, 0 :: v_dual_mov_b32 v28, 0
	s_waitcnt lgkmcnt(1)
	;;#ASMSTART
	v_dot2_f32_f16 v29, v30, v34, v29
	;;#ASMEND
	;;#ASMSTART
	v_dot2_f32_f16 v29, v31, v35, v29
	;;#ASMEND
	;;#ASMSTART
	v_dot2_f32_f16 v29, v32, v36, v29
	;;#ASMEND
	;;#ASMSTART
	v_dot2_f32_f16 v29, v33, v37, v29
	;;#ASMEND
	s_waitcnt lgkmcnt(0)
	;;#ASMSTART
	v_dot2_f32_f16 v28, v30, v38, v28
	;;#ASMEND
	;;#ASMSTART
	v_dot2_f32_f16 v28, v31, v39, v28
	;;#ASMEND
	;;#ASMSTART
	v_dot2_f32_f16 v28, v32, v40, v28
	;;#ASMEND
	;;#ASMSTART
	v_dot2_f32_f16 v28, v33, v41, v28
	;;#ASMEND
	ds_load_b128 v[30:33], v17 offset:16
	ds_load_b128 v[34:37], v18 offset:16
	ds_load_b128 v[38:41], v18 offset:400
	s_waitcnt lgkmcnt(1)
	;;#ASMSTART
	v_dot2_f32_f16 v29, v30, v34, v29
	;;#ASMEND
	;;#ASMSTART
	v_dot2_f32_f16 v29, v31, v35, v29
	;;#ASMEND
	;;#ASMSTART
	v_dot2_f32_f16 v29, v32, v36, v29
	;;#ASMEND
	;;#ASMSTART
	v_dot2_f32_f16 v29, v33, v37, v29
	;;#ASMEND
	s_waitcnt lgkmcnt(0)
	;;#ASMSTART
	v_dot2_f32_f16 v28, v30, v38, v28
	;;#ASMEND
	;;#ASMSTART
	v_dot2_f32_f16 v28, v31, v39, v28
	;;#ASMEND
	;;#ASMSTART
	v_dot2_f32_f16 v28, v32, v40, v28
	;;#ASMEND
	;;#ASMSTART
	v_dot2_f32_f16 v28, v33, v41, v28
	;;#ASMEND
	ds_load_b128 v[30:33], v17 offset:32
	ds_load_b128 v[34:37], v18 offset:32
	ds_load_b128 v[38:41], v18 offset:416
	;; [unrolled: 29-line block ×7, first 2 shown]
	s_waitcnt lgkmcnt(1)
	;;#ASMSTART
	v_dot2_f32_f16 v29, v30, v34, v29
	;;#ASMEND
	;;#ASMSTART
	v_dot2_f32_f16 v29, v31, v35, v29
	;;#ASMEND
	;;#ASMSTART
	v_dot2_f32_f16 v29, v32, v36, v29
	;;#ASMEND
	;;#ASMSTART
	v_dot2_f32_f16 v29, v33, v37, v29
	;;#ASMEND
	s_waitcnt lgkmcnt(0)
	;;#ASMSTART
	v_dot2_f32_f16 v28, v30, v38, v28
	;;#ASMEND
	;;#ASMSTART
	v_dot2_f32_f16 v28, v31, v39, v28
	;;#ASMEND
	;; [unrolled: 3-line block ×4, first 2 shown]
	s_barrier
	buffer_gl0_inv
	global_load_b128 v[30:33], v[3:4], off offset:128
	s_waitcnt vmcnt(0)
	ds_store_b128 v9, v[30:33]
	s_waitcnt lgkmcnt(0)
	s_barrier
	buffer_gl0_inv
	ds_load_b128 v[30:33], v17
	ds_load_b128 v[34:37], v18 offset:128
	ds_load_b128 v[38:41], v18 offset:512
	s_waitcnt lgkmcnt(1)
	;;#ASMSTART
	v_dot2_f32_f16 v29, v30, v34, v29
	;;#ASMEND
	;;#ASMSTART
	v_dot2_f32_f16 v29, v31, v35, v29
	;;#ASMEND
	;;#ASMSTART
	v_dot2_f32_f16 v29, v32, v36, v29
	;;#ASMEND
	;;#ASMSTART
	v_dot2_f32_f16 v29, v33, v37, v29
	;;#ASMEND
	s_waitcnt lgkmcnt(0)
	;;#ASMSTART
	v_dot2_f32_f16 v28, v30, v38, v28
	;;#ASMEND
	;;#ASMSTART
	v_dot2_f32_f16 v28, v31, v39, v28
	;;#ASMEND
	;;#ASMSTART
	v_dot2_f32_f16 v28, v32, v40, v28
	;;#ASMEND
	;;#ASMSTART
	v_dot2_f32_f16 v28, v33, v41, v28
	;;#ASMEND
	ds_load_b128 v[30:33], v17 offset:16
	ds_load_b128 v[34:37], v18 offset:144
	ds_load_b128 v[38:41], v18 offset:528
	s_waitcnt lgkmcnt(1)
	;;#ASMSTART
	v_dot2_f32_f16 v29, v30, v34, v29
	;;#ASMEND
	;;#ASMSTART
	v_dot2_f32_f16 v29, v31, v35, v29
	;;#ASMEND
	;;#ASMSTART
	v_dot2_f32_f16 v29, v32, v36, v29
	;;#ASMEND
	;;#ASMSTART
	v_dot2_f32_f16 v29, v33, v37, v29
	;;#ASMEND
	s_waitcnt lgkmcnt(0)
	;;#ASMSTART
	v_dot2_f32_f16 v28, v30, v38, v28
	;;#ASMEND
	;;#ASMSTART
	v_dot2_f32_f16 v28, v31, v39, v28
	;;#ASMEND
	;;#ASMSTART
	v_dot2_f32_f16 v28, v32, v40, v28
	;;#ASMEND
	;;#ASMSTART
	v_dot2_f32_f16 v28, v33, v41, v28
	;;#ASMEND
	ds_load_b128 v[30:33], v17 offset:32
	;; [unrolled: 29-line block ×7, first 2 shown]
	ds_load_b128 v[34:37], v18 offset:240
	ds_load_b128 v[38:41], v18 offset:624
	s_waitcnt lgkmcnt(1)
	;;#ASMSTART
	v_dot2_f32_f16 v29, v30, v34, v29
	;;#ASMEND
	;;#ASMSTART
	v_dot2_f32_f16 v29, v31, v35, v29
	;;#ASMEND
	;; [unrolled: 3-line block ×4, first 2 shown]
	s_waitcnt lgkmcnt(0)
	;;#ASMSTART
	v_dot2_f32_f16 v28, v30, v38, v28
	;;#ASMEND
	;;#ASMSTART
	v_dot2_f32_f16 v28, v31, v39, v28
	;;#ASMEND
	;; [unrolled: 3-line block ×4, first 2 shown]
	s_barrier
	buffer_gl0_inv
	global_load_b128 v[30:33], v[3:4], off offset:256
	v_add_nc_u32_e32 v3, s4, v2
	s_delay_alu instid0(VALU_DEP_1) | instskip(NEXT) | instid1(VALU_DEP_1)
	v_ashrrev_i32_e32 v4, 31, v3
	v_lshlrev_b64 v[3:4], 1, v[3:4]
	s_delay_alu instid0(VALU_DEP_1) | instskip(NEXT) | instid1(VALU_DEP_2)
	v_add_co_u32 v3, vcc_lo, s36, v3
	v_add_co_ci_u32_e32 v4, vcc_lo, s37, v4, vcc_lo
	s_waitcnt vmcnt(0)
	ds_store_b128 v9, v[30:33]
	s_waitcnt lgkmcnt(0)
	s_barrier
	buffer_gl0_inv
	ds_load_b128 v[30:33], v17
	ds_load_b128 v[34:37], v18 offset:256
	ds_load_b128 v[38:41], v18 offset:640
	s_waitcnt lgkmcnt(1)
	;;#ASMSTART
	v_dot2_f32_f16 v29, v30, v34, v29
	;;#ASMEND
	;;#ASMSTART
	v_dot2_f32_f16 v29, v31, v35, v29
	;;#ASMEND
	;;#ASMSTART
	v_dot2_f32_f16 v29, v32, v36, v29
	;;#ASMEND
	;;#ASMSTART
	v_dot2_f32_f16 v29, v33, v37, v29
	;;#ASMEND
	s_waitcnt lgkmcnt(0)
	;;#ASMSTART
	v_dot2_f32_f16 v28, v30, v38, v28
	;;#ASMEND
	;;#ASMSTART
	v_dot2_f32_f16 v28, v31, v39, v28
	;;#ASMEND
	;;#ASMSTART
	v_dot2_f32_f16 v28, v32, v40, v28
	;;#ASMEND
	;;#ASMSTART
	v_dot2_f32_f16 v28, v33, v41, v28
	;;#ASMEND
	ds_load_b128 v[30:33], v17 offset:16
	ds_load_b128 v[34:37], v18 offset:272
	ds_load_b128 v[38:41], v18 offset:656
	s_waitcnt lgkmcnt(1)
	;;#ASMSTART
	v_dot2_f32_f16 v29, v30, v34, v29
	;;#ASMEND
	;;#ASMSTART
	v_dot2_f32_f16 v29, v31, v35, v29
	;;#ASMEND
	;;#ASMSTART
	v_dot2_f32_f16 v29, v32, v36, v29
	;;#ASMEND
	;;#ASMSTART
	v_dot2_f32_f16 v29, v33, v37, v29
	;;#ASMEND
	s_waitcnt lgkmcnt(0)
	;;#ASMSTART
	v_dot2_f32_f16 v28, v30, v38, v28
	;;#ASMEND
	;;#ASMSTART
	v_dot2_f32_f16 v28, v31, v39, v28
	;;#ASMEND
	;;#ASMSTART
	v_dot2_f32_f16 v28, v32, v40, v28
	;;#ASMEND
	;;#ASMSTART
	v_dot2_f32_f16 v28, v33, v41, v28
	;;#ASMEND
	ds_load_b128 v[30:33], v17 offset:32
	;; [unrolled: 29-line block ×7, first 2 shown]
	ds_load_b128 v[34:37], v18 offset:368
	ds_load_b128 v[38:41], v18 offset:752
	s_waitcnt lgkmcnt(1)
	;;#ASMSTART
	v_dot2_f32_f16 v29, v30, v34, v29
	;;#ASMEND
	;;#ASMSTART
	v_dot2_f32_f16 v29, v31, v35, v29
	;;#ASMEND
	;; [unrolled: 3-line block ×4, first 2 shown]
	s_waitcnt lgkmcnt(0)
	;;#ASMSTART
	v_dot2_f32_f16 v28, v30, v38, v28
	;;#ASMEND
	;;#ASMSTART
	v_dot2_f32_f16 v28, v31, v39, v28
	;;#ASMEND
	;; [unrolled: 3-line block ×4, first 2 shown]
	flat_load_u16 v3, v[3:4]
	v_cmp_ngt_f32_e64 s11, 0x3f200000, |v29|
                                        ; implicit-def: $vgpr4
	s_delay_alu instid0(VALU_DEP_1) | instskip(NEXT) | instid1(SALU_CYCLE_1)
	s_and_saveexec_b32 s13, s11
	s_xor_b32 s11, exec_lo, s13
	s_cbranch_execz .LBB20_15
; %bb.14:                               ;   in Loop: Header=BB20_13 Depth=1
	v_add_f32_e64 v4, |v29|, |v29|
	s_delay_alu instid0(VALU_DEP_1) | instskip(SKIP_1) | instid1(VALU_DEP_2)
	v_mul_f32_e32 v30, 0x3fb8aa3b, v4
	v_cmp_ngt_f32_e32 vcc_lo, 0xc2ce8ed0, v4
	v_rndne_f32_e32 v31, v30
	v_fma_f32 v32, 0x3fb8aa3b, v4, -v30
	s_delay_alu instid0(VALU_DEP_2) | instskip(NEXT) | instid1(VALU_DEP_2)
	v_sub_f32_e32 v30, v30, v31
	v_fmac_f32_e32 v32, 0x32a5705f, v4
	v_cvt_i32_f32_e32 v31, v31
	s_delay_alu instid0(VALU_DEP_2) | instskip(NEXT) | instid1(VALU_DEP_1)
	v_add_f32_e32 v30, v30, v32
	v_exp_f32_e32 v30, v30
	s_waitcnt_depctr 0xfff
	v_ldexp_f32 v30, v30, v31
	s_delay_alu instid0(VALU_DEP_1) | instskip(SKIP_1) | instid1(VALU_DEP_2)
	v_cndmask_b32_e32 v30, 0, v30, vcc_lo
	v_cmp_nlt_f32_e32 vcc_lo, 0x42b17218, v4
	v_cndmask_b32_e32 v4, 0x7f800000, v30, vcc_lo
	s_delay_alu instid0(VALU_DEP_1) | instskip(NEXT) | instid1(VALU_DEP_1)
	v_add_f32_e32 v4, 1.0, v4
	v_rcp_f32_e32 v4, v4
	s_waitcnt_depctr 0xfff
	v_fma_f32 v4, v4, -2.0, 1.0
.LBB20_15:                              ;   in Loop: Header=BB20_13 Depth=1
	s_and_not1_saveexec_b32 s11, s11
; %bb.16:                               ;   in Loop: Header=BB20_13 Depth=1
	v_mul_f32_e32 v4, v29, v29
	s_delay_alu instid0(VALU_DEP_1) | instskip(NEXT) | instid1(VALU_DEP_1)
	v_fmaak_f32 v30, s9, v4, 0x3ca908c9
	v_fmaak_f32 v30, v4, v30, 0xbd5c1c4e
	s_delay_alu instid0(VALU_DEP_1) | instskip(NEXT) | instid1(VALU_DEP_1)
	v_fmaak_f32 v30, v4, v30, 0x3e088382
	v_fmaak_f32 v30, v4, v30, 0xbeaaaa99
	s_delay_alu instid0(VALU_DEP_1) | instskip(NEXT) | instid1(VALU_DEP_1)
	v_mul_f32_e64 v30, |v29|, v30
	v_fma_f32 v4, v4, v30, |v29|
; %bb.17:                               ;   in Loop: Header=BB20_13 Depth=1
	s_or_b32 exec_lo, exec_lo, s11
	s_delay_alu instid0(VALU_DEP_1)
	v_bfi_b32 v4, 0x7fffffff, v4, v29
	v_xor_b32_e32 v33, 16, v5
	v_max_f32_e32 v30, v26, v26
	v_cmp_ngt_f32_e64 s11, 0x3f200000, |v28|
	s_waitcnt vmcnt(0) lgkmcnt(0)
	v_fma_mix_f32 v34, v4, s8, v3 op_sel_hi:[0,0,1]
	v_cmp_gt_i32_e32 vcc_lo, 32, v33
	s_delay_alu instid0(VALU_DEP_2) | instskip(NEXT) | instid1(VALU_DEP_1)
	v_dual_add_f32 v29, 0x40051340, v34 :: v_dual_cndmask_b32 v4, v5, v33
	v_max_f32_e32 v30, v30, v29
	v_xor_b32_e32 v29, 8, v5
	s_delay_alu instid0(VALU_DEP_1) | instskip(SKIP_1) | instid1(VALU_DEP_1)
	v_cmp_gt_i32_e32 vcc_lo, 32, v29
	v_cndmask_b32_e32 v32, v5, v29, vcc_lo
	v_lshlrev_b32_e32 v35, 2, v32
	v_lshlrev_b32_e32 v4, 2, v4
	ds_bpermute_b32 v31, v4, v30
	s_waitcnt lgkmcnt(0)
	v_max_f32_e32 v31, v31, v31
	s_delay_alu instid0(VALU_DEP_1) | instskip(SKIP_4) | instid1(VALU_DEP_1)
	v_max_f32_e32 v31, v30, v31
	v_xor_b32_e32 v30, 4, v5
	ds_bpermute_b32 v32, v35, v31
	v_cmp_gt_i32_e32 vcc_lo, 32, v30
	v_cndmask_b32_e32 v36, v5, v30, vcc_lo
	v_lshlrev_b32_e32 v36, 2, v36
	s_waitcnt lgkmcnt(0)
	v_max_f32_e32 v32, v32, v32
	s_delay_alu instid0(VALU_DEP_1)
	v_max_f32_e32 v32, v31, v32
	v_xor_b32_e32 v31, 2, v5
	ds_bpermute_b32 v37, v36, v32
	v_cmp_gt_i32_e32 vcc_lo, 32, v31
	v_cndmask_b32_e32 v38, v5, v31, vcc_lo
	s_waitcnt lgkmcnt(0)
	v_max_f32_e32 v39, v37, v37
	s_delay_alu instid0(VALU_DEP_1)
	v_dual_max_f32 v38, v32, v39 :: v_dual_lshlrev_b32 v37, 2, v38
	v_xor_b32_e32 v32, 1, v5
	ds_bpermute_b32 v39, v37, v38
	v_cmp_gt_i32_e32 vcc_lo, 32, v32
	s_waitcnt lgkmcnt(0)
	v_dual_cndmask_b32 v40, v5, v32 :: v_dual_max_f32 v41, v39, v39
	s_delay_alu instid0(VALU_DEP_1) | instskip(SKIP_2) | instid1(SALU_CYCLE_1)
	v_dual_max_f32 v38, v38, v41 :: v_dual_lshlrev_b32 v39, 2, v40
                                        ; implicit-def: $vgpr41
	ds_bpermute_b32 v40, v39, v38
	s_and_saveexec_b32 s13, s11
	s_xor_b32 s11, exec_lo, s13
	s_cbranch_execz .LBB20_19
; %bb.18:                               ;   in Loop: Header=BB20_13 Depth=1
	v_add_f32_e64 v41, |v28|, |v28|
	s_delay_alu instid0(VALU_DEP_1) | instskip(SKIP_1) | instid1(VALU_DEP_2)
	v_mul_f32_e32 v42, 0x3fb8aa3b, v41
	v_cmp_ngt_f32_e32 vcc_lo, 0xc2ce8ed0, v41
	v_rndne_f32_e32 v43, v42
	v_fma_f32 v44, 0x3fb8aa3b, v41, -v42
	s_delay_alu instid0(VALU_DEP_2) | instskip(NEXT) | instid1(VALU_DEP_2)
	v_sub_f32_e32 v42, v42, v43
	v_fmac_f32_e32 v44, 0x32a5705f, v41
	v_cvt_i32_f32_e32 v43, v43
	s_delay_alu instid0(VALU_DEP_2) | instskip(NEXT) | instid1(VALU_DEP_1)
	v_add_f32_e32 v42, v42, v44
	v_exp_f32_e32 v42, v42
	s_waitcnt_depctr 0xfff
	v_ldexp_f32 v42, v42, v43
	s_delay_alu instid0(VALU_DEP_1) | instskip(SKIP_1) | instid1(VALU_DEP_2)
	v_cndmask_b32_e32 v42, 0, v42, vcc_lo
	v_cmp_nlt_f32_e32 vcc_lo, 0x42b17218, v41
	v_cndmask_b32_e32 v41, 0x7f800000, v42, vcc_lo
	s_delay_alu instid0(VALU_DEP_1) | instskip(NEXT) | instid1(VALU_DEP_1)
	v_add_f32_e32 v41, 1.0, v41
	v_rcp_f32_e32 v41, v41
	s_waitcnt_depctr 0xfff
	v_fma_f32 v41, v41, -2.0, 1.0
.LBB20_19:                              ;   in Loop: Header=BB20_13 Depth=1
	s_and_not1_saveexec_b32 s11, s11
; %bb.20:                               ;   in Loop: Header=BB20_13 Depth=1
	v_mul_f32_e32 v41, v28, v28
	s_delay_alu instid0(VALU_DEP_1) | instskip(NEXT) | instid1(VALU_DEP_1)
	v_fmaak_f32 v42, s9, v41, 0x3ca908c9
	v_fmaak_f32 v42, v41, v42, 0xbd5c1c4e
	s_delay_alu instid0(VALU_DEP_1) | instskip(NEXT) | instid1(VALU_DEP_1)
	v_fmaak_f32 v42, v41, v42, 0x3e088382
	v_fmaak_f32 v42, v41, v42, 0xbeaaaa99
	s_delay_alu instid0(VALU_DEP_1) | instskip(NEXT) | instid1(VALU_DEP_1)
	v_mul_f32_e64 v42, |v28|, v42
	v_fma_f32 v41, v41, v42, |v28|
; %bb.21:                               ;   in Loop: Header=BB20_13 Depth=1
	s_or_b32 exec_lo, exec_lo, s11
	s_mul_hi_i32 s17, s4, s5
	s_mul_i32 s16, s4, s5
	s_waitcnt lgkmcnt(0)
	s_lshl_b64 s[16:17], s[16:17], 2
	s_barrier
	v_add_co_u32 v42, vcc_lo, v22, s16
	v_add_co_ci_u32_e32 v43, vcc_lo, s17, v23, vcc_lo
	buffer_gl0_inv
	v_cvt_f32_f16_e32 v46, v3
	v_bfi_b32 v3, 0x7fffffff, v41, v28
	global_load_b128 v[42:45], v[42:43], off
	s_or_b32 s11, s4, 16
	v_add_nc_u32_e32 v87, 0x800, v24
	s_mul_hi_i32 s17, s11, s5
	v_fmac_f32_e32 v46, s8, v3
	v_max_f32_e32 v3, v27, v27
	s_mul_i32 s16, s11, s5
	s_delay_alu instid0(SALU_CYCLE_1) | instskip(NEXT) | instid1(VALU_DEP_2)
	s_lshl_b64 s[16:17], s[16:17], 2
	v_add_f32_e32 v28, 0x40051340, v46
	s_delay_alu instid0(VALU_DEP_1) | instskip(SKIP_4) | instid1(VALU_DEP_1)
	v_max_f32_e32 v3, v3, v28
	v_max_f32_e32 v28, v40, v40
	ds_bpermute_b32 v4, v4, v3
	s_waitcnt lgkmcnt(0)
	v_max_f32_e32 v4, v4, v4
	v_max_f32_e32 v3, v3, v4
	ds_bpermute_b32 v4, v35, v3
	s_waitcnt lgkmcnt(0)
	v_dual_max_f32 v35, v38, v38 :: v_dual_max_f32 v4, v4, v4
	s_delay_alu instid0(VALU_DEP_1) | instskip(SKIP_3) | instid1(VALU_DEP_1)
	v_max_f32_e32 v3, v3, v4
	ds_bpermute_b32 v4, v36, v3
	s_waitcnt lgkmcnt(0)
	v_max_f32_e32 v4, v4, v4
	v_max_f32_e32 v3, v3, v4
	ds_bpermute_b32 v4, v37, v3
	s_waitcnt lgkmcnt(0)
	v_max_f32_e32 v4, v4, v4
	s_delay_alu instid0(VALU_DEP_1) | instskip(SKIP_4) | instid1(VALU_DEP_1)
	v_max_f32_e32 v4, v3, v4
	ds_bpermute_b32 v3, v39, v4
	s_waitcnt lgkmcnt(0)
	v_max_f32_e32 v36, v3, v3
	v_max_f32_e32 v3, v35, v28
	v_sub_f32_e32 v28, v34, v3
	s_delay_alu instid0(VALU_DEP_1) | instskip(SKIP_1) | instid1(VALU_DEP_2)
	v_mul_f32_e32 v35, 0x3fb8aa3b, v28
	v_cmp_ngt_f32_e32 vcc_lo, 0xc2ce8ed0, v28
	v_fma_f32 v37, 0x3fb8aa3b, v28, -v35
	v_rndne_f32_e32 v38, v35
	s_delay_alu instid0(VALU_DEP_2) | instskip(NEXT) | instid1(VALU_DEP_2)
	v_fmac_f32_e32 v37, 0x32a5705f, v28
	v_sub_f32_e32 v35, v35, v38
	s_delay_alu instid0(VALU_DEP_1) | instskip(SKIP_1) | instid1(VALU_DEP_2)
	v_add_f32_e32 v35, v35, v37
	v_cvt_i32_f32_e32 v37, v38
	v_exp_f32_e32 v35, v35
	s_waitcnt_depctr 0xfff
	v_ldexp_f32 v35, v35, v37
	s_delay_alu instid0(VALU_DEP_1) | instskip(NEXT) | instid1(VALU_DEP_1)
	v_dual_cndmask_b32 v35, 0, v35 :: v_dual_max_f32 v4, v4, v36
	v_sub_f32_e32 v27, v27, v4
	s_delay_alu instid0(VALU_DEP_1) | instskip(SKIP_1) | instid1(VALU_DEP_2)
	v_mul_f32_e32 v88, 0x3fb8aa3b, v27
	v_sub_f32_e32 v26, v26, v3
	v_fma_f32 v90, 0x3fb8aa3b, v27, -v88
	s_delay_alu instid0(VALU_DEP_2) | instskip(SKIP_1) | instid1(VALU_DEP_2)
	v_mul_f32_e32 v89, 0x3fb8aa3b, v26
	v_rndne_f32_e32 v91, v88
	v_fma_f32 v92, 0x3fb8aa3b, v26, -v89
	s_delay_alu instid0(VALU_DEP_2) | instskip(SKIP_1) | instid1(VALU_DEP_1)
	v_sub_f32_e32 v88, v88, v91
	v_rndne_f32_e32 v93, v89
	v_dual_fmac_f32 v92, 0x32a5705f, v26 :: v_dual_sub_f32 v89, v89, v93
	s_delay_alu instid0(VALU_DEP_1) | instskip(NEXT) | instid1(VALU_DEP_1)
	v_dual_fmac_f32 v90, 0x32a5705f, v27 :: v_dual_add_f32 v89, v89, v92
	v_add_f32_e32 v88, v88, v90
	v_cvt_i32_f32_e32 v90, v91
	v_cvt_i32_f32_e32 v91, v93
	s_delay_alu instid0(VALU_DEP_4) | instskip(NEXT) | instid1(VALU_DEP_3)
	v_exp_f32_e32 v89, v89
	v_exp_f32_e32 v88, v88
	s_waitcnt_depctr 0xfff
	v_ldexp_f32 v89, v89, v91
	v_sub_f32_e32 v34, v46, v4
	v_ldexp_f32 v88, v88, v90
	s_delay_alu instid0(VALU_DEP_2) | instskip(SKIP_1) | instid1(VALU_DEP_2)
	v_mul_f32_e32 v36, 0x3fb8aa3b, v34
	v_cmp_ngt_f32_e32 vcc_lo, 0xc2ce8ed0, v34
	v_fma_f32 v39, 0x3fb8aa3b, v34, -v36
	v_rndne_f32_e32 v40, v36
	s_delay_alu instid0(VALU_DEP_1) | instskip(SKIP_1) | instid1(VALU_DEP_2)
	v_dual_fmac_f32 v39, 0x32a5705f, v34 :: v_dual_sub_f32 v36, v36, v40
	v_cvt_i32_f32_e32 v38, v40
	v_add_f32_e32 v36, v36, v39
	s_delay_alu instid0(VALU_DEP_1) | instskip(SKIP_2) | instid1(VALU_DEP_1)
	v_exp_f32_e32 v36, v36
	s_waitcnt_depctr 0xfff
	v_ldexp_f32 v36, v36, v38
	v_cndmask_b32_e32 v36, 0, v36, vcc_lo
	v_cmp_nlt_f32_e32 vcc_lo, 0x42b17218, v28
	v_cndmask_b32_e32 v86, 0x7f800000, v35, vcc_lo
	v_cmp_nlt_f32_e32 vcc_lo, 0x42b17218, v34
	s_delay_alu instid0(VALU_DEP_2) | instskip(SKIP_3) | instid1(VALU_DEP_3)
	v_cvt_f16_f32_e32 v34, v86
	v_cndmask_b32_e32 v28, 0x7f800000, v36, vcc_lo
	v_add_co_u32 v82, vcc_lo, v22, s16
	v_add_co_ci_u32_e32 v83, vcc_lo, s17, v23, vcc_lo
	v_cvt_f16_f32_e32 v35, v28
	v_cmp_ngt_f32_e32 vcc_lo, 0xc2ce8ed0, v27
	s_delay_alu instid0(VALU_DEP_2)
	v_pack_b32_f16 v34, v34, v35
	ds_store_b32 v20, v34
	s_waitcnt vmcnt(0)
	ds_store_b128 v21, v[42:45]
	s_waitcnt lgkmcnt(0)
	s_barrier
	buffer_gl0_inv
	ds_load_2addr_b64 v[34:37], v24 offset1:32
	ds_load_b128 v[38:41], v19
	ds_load_b128 v[42:45], v19 offset:16
	ds_load_b128 v[46:49], v19 offset:32
	;; [unrolled: 1-line block ×3, first 2 shown]
	ds_load_2addr_b64 v[54:57], v24 offset0:64 offset1:96
	ds_load_2addr_b64 v[58:61], v24 offset0:128 offset1:160
	;; [unrolled: 1-line block ×3, first 2 shown]
	ds_load_2addr_b64 v[66:69], v87 offset1:32
	ds_load_2addr_b64 v[70:73], v87 offset0:64 offset1:96
	ds_load_2addr_b64 v[74:77], v87 offset0:128 offset1:160
	;; [unrolled: 1-line block ×3, first 2 shown]
	s_waitcnt lgkmcnt(0)
	s_barrier
	buffer_gl0_inv
	global_load_b128 v[82:85], v[82:83], off
	v_cndmask_b32_e32 v88, 0, v88, vcc_lo
	v_cmp_ngt_f32_e32 vcc_lo, 0xc2ce8ed0, v26
	v_pk_mul_f16 v90, v34, v38 op_sel_hi:[1,0]
	v_cndmask_b32_e32 v89, 0, v89, vcc_lo
	v_cmp_nlt_f32_e32 vcc_lo, 0x42b17218, v27
	v_pk_mul_f16 v34, v34, v38 op_sel:[0,1]
	v_pk_mul_f16 v91, v35, v38 op_sel_hi:[1,0]
	v_cndmask_b32_e32 v27, 0x7f800000, v88, vcc_lo
	v_cmp_nlt_f32_e32 vcc_lo, 0x42b17218, v26
	s_delay_alu instid0(VALU_DEP_2) | instskip(SKIP_2) | instid1(VALU_DEP_3)
	v_cvt_f16_f32_e32 v88, v27
	v_cndmask_b32_e32 v26, 0x7f800000, v89, vcc_lo
	v_fmac_f32_e32 v28, v25, v27
	v_pk_mul_f16 v13, v88, v13 op_sel_hi:[0,1]
	s_delay_alu instid0(VALU_DEP_3) | instskip(SKIP_2) | instid1(VALU_DEP_4)
	v_cvt_f16_f32_e32 v89, v26
	v_pk_fma_f16 v12, v12, v88, v34 op_sel_hi:[1,0,1]
	v_fma_f32 v8, v8, v26, v86
	v_pk_fma_f16 v13, v35, v38, v13 op_sel:[0,1,0]
	s_delay_alu instid0(VALU_DEP_4) | instskip(SKIP_2) | instid1(VALU_DEP_4)
	v_pk_fma_f16 v14, v89, v14, v90 op_sel_hi:[0,1,1]
	v_pk_fma_f16 v15, v89, v15, v91 op_sel_hi:[0,1,1]
	v_pk_fma_f16 v12, v36, v39, v12 op_sel:[0,1,0]
	v_pk_fma_f16 v13, v37, v39, v13 op_sel:[0,1,0]
	s_delay_alu instid0(VALU_DEP_4) | instskip(NEXT) | instid1(VALU_DEP_4)
	v_pk_fma_f16 v14, v36, v39, v14 op_sel_hi:[1,0,1]
	v_pk_fma_f16 v15, v37, v39, v15 op_sel_hi:[1,0,1]
	s_delay_alu instid0(VALU_DEP_4) | instskip(NEXT) | instid1(VALU_DEP_4)
	v_pk_fma_f16 v12, v54, v40, v12 op_sel:[0,1,0]
	v_pk_fma_f16 v13, v55, v40, v13 op_sel:[0,1,0]
	s_delay_alu instid0(VALU_DEP_4) | instskip(NEXT) | instid1(VALU_DEP_4)
	v_pk_fma_f16 v14, v54, v40, v14 op_sel_hi:[1,0,1]
	v_pk_fma_f16 v15, v55, v40, v15 op_sel_hi:[1,0,1]
	s_delay_alu instid0(VALU_DEP_4) | instskip(NEXT) | instid1(VALU_DEP_4)
	;; [unrolled: 6-line block ×14, first 2 shown]
	v_pk_fma_f16 v52, v80, v53, v42 op_sel:[0,1,0]
	v_pk_fma_f16 v50, v81, v53, v44 op_sel:[0,1,0]
	s_delay_alu instid0(VALU_DEP_4) | instskip(NEXT) | instid1(VALU_DEP_4)
	v_pk_fma_f16 v51, v80, v53, v45 op_sel_hi:[1,0,1]
	v_pk_fma_f16 v53, v81, v53, v43 op_sel_hi:[1,0,1]
	s_waitcnt vmcnt(0)
	ds_store_b128 v21, v[82:85]
	s_waitcnt lgkmcnt(0)
	s_barrier
	buffer_gl0_inv
	ds_load_2addr_b64 v[12:15], v24 offset1:32
	ds_load_b128 v[34:37], v19 offset:64
	ds_load_2addr_b64 v[38:41], v24 offset0:64 offset1:96
	ds_load_b128 v[42:45], v19 offset:80
	ds_load_2addr_b64 v[46:49], v24 offset0:128 offset1:160
	s_waitcnt lgkmcnt(3)
	v_pk_fma_f16 v51, v12, v34, v51 op_sel_hi:[1,0,1]
	v_pk_fma_f16 v12, v12, v34, v52 op_sel:[0,1,0]
	v_pk_fma_f16 v52, v13, v34, v53 op_sel_hi:[1,0,1]
	v_pk_fma_f16 v13, v13, v34, v50 op_sel:[0,1,0]
	s_delay_alu instid0(VALU_DEP_4) | instskip(NEXT) | instid1(VALU_DEP_4)
	v_pk_fma_f16 v34, v14, v35, v51 op_sel_hi:[1,0,1]
	v_pk_fma_f16 v50, v14, v35, v12 op_sel:[0,1,0]
	s_delay_alu instid0(VALU_DEP_4) | instskip(NEXT) | instid1(VALU_DEP_4)
	v_pk_fma_f16 v51, v15, v35, v52 op_sel_hi:[1,0,1]
	v_pk_fma_f16 v35, v15, v35, v13 op_sel:[0,1,0]
	ds_load_2addr_b64 v[12:15], v24 offset0:192 offset1:224
	s_waitcnt lgkmcnt(3)
	v_pk_fma_f16 v34, v38, v36, v34 op_sel_hi:[1,0,1]
	v_pk_fma_f16 v38, v38, v36, v50 op_sel:[0,1,0]
	v_pk_fma_f16 v58, v39, v36, v51 op_sel_hi:[1,0,1]
	v_pk_fma_f16 v35, v39, v36, v35 op_sel:[0,1,0]
	ds_load_b128 v[50:53], v19 offset:96
	ds_load_b128 v[54:57], v19 offset:112
	v_pk_fma_f16 v39, v40, v37, v34 op_sel_hi:[1,0,1]
	v_pk_fma_f16 v38, v40, v37, v38 op_sel:[0,1,0]
	v_pk_fma_f16 v40, v41, v37, v58 op_sel_hi:[1,0,1]
	v_pk_fma_f16 v41, v41, v37, v35 op_sel:[0,1,0]
	ds_load_2addr_b64 v[34:37], v87 offset1:32
	s_waitcnt lgkmcnt(4)
	v_pk_fma_f16 v58, v46, v42, v39 op_sel_hi:[1,0,1]
	v_pk_fma_f16 v46, v46, v42, v38 op_sel:[0,1,0]
	v_pk_fma_f16 v59, v47, v42, v40 op_sel_hi:[1,0,1]
	v_pk_fma_f16 v42, v47, v42, v41 op_sel:[0,1,0]
	ds_load_2addr_b64 v[38:41], v87 offset0:64 offset1:96
	v_pk_fma_f16 v58, v48, v43, v58 op_sel_hi:[1,0,1]
	v_pk_fma_f16 v60, v48, v43, v46 op_sel:[0,1,0]
	v_pk_fma_f16 v59, v49, v43, v59 op_sel_hi:[1,0,1]
	v_pk_fma_f16 v42, v49, v43, v42 op_sel:[0,1,0]
	ds_load_2addr_b64 v[46:49], v87 offset0:128 offset1:160
	s_waitcnt lgkmcnt(5)
	v_pk_fma_f16 v43, v12, v44, v58 op_sel_hi:[1,0,1]
	v_pk_fma_f16 v12, v12, v44, v60 op_sel:[0,1,0]
	v_pk_fma_f16 v62, v13, v44, v59 op_sel_hi:[1,0,1]
	v_pk_fma_f16 v13, v13, v44, v42 op_sel:[0,1,0]
	ds_load_2addr_b64 v[58:61], v87 offset0:192 offset1:224
	v_pk_fma_f16 v42, v14, v45, v43 op_sel_hi:[1,0,1]
	v_pk_fma_f16 v12, v14, v45, v12 op_sel:[0,1,0]
	v_pk_fma_f16 v14, v15, v45, v62 op_sel_hi:[1,0,1]
	v_pk_fma_f16 v13, v15, v45, v13 op_sel:[0,1,0]
	s_waitcnt lgkmcnt(0)
	v_pk_fma_f16 v15, v34, v50, v42 op_sel_hi:[1,0,1]
	v_pk_fma_f16 v12, v34, v50, v12 op_sel:[0,1,0]
	v_pk_fma_f16 v14, v35, v50, v14 op_sel_hi:[1,0,1]
	v_pk_fma_f16 v13, v35, v50, v13 op_sel:[0,1,0]
	s_barrier
	v_pk_fma_f16 v15, v36, v51, v15 op_sel_hi:[1,0,1]
	v_pk_fma_f16 v12, v36, v51, v12 op_sel:[0,1,0]
	v_pk_fma_f16 v14, v37, v51, v14 op_sel_hi:[1,0,1]
	v_pk_fma_f16 v13, v37, v51, v13 op_sel:[0,1,0]
	buffer_gl0_inv
	v_pk_fma_f16 v15, v38, v52, v15 op_sel_hi:[1,0,1]
	v_pk_fma_f16 v12, v38, v52, v12 op_sel:[0,1,0]
	v_pk_fma_f16 v14, v39, v52, v14 op_sel_hi:[1,0,1]
	v_pk_fma_f16 v13, v39, v52, v13 op_sel:[0,1,0]
	s_load_b32 s11, s[2:3], 0x4
	v_pk_fma_f16 v15, v40, v53, v15 op_sel_hi:[1,0,1]
	v_pk_fma_f16 v12, v40, v53, v12 op_sel:[0,1,0]
	v_pk_fma_f16 v14, v41, v53, v14 op_sel_hi:[1,0,1]
	v_pk_fma_f16 v13, v41, v53, v13 op_sel:[0,1,0]
	s_delay_alu instid0(VALU_DEP_4) | instskip(NEXT) | instid1(VALU_DEP_4)
	v_pk_fma_f16 v15, v46, v54, v15 op_sel_hi:[1,0,1]
	v_pk_fma_f16 v12, v46, v54, v12 op_sel:[0,1,0]
	s_delay_alu instid0(VALU_DEP_4) | instskip(NEXT) | instid1(VALU_DEP_4)
	;; [unrolled: 3-line block ×6, first 2 shown]
	v_pk_fma_f16 v25, v59, v56, v14 op_sel_hi:[1,0,1]
	v_pk_fma_f16 v13, v59, v56, v13 op_sel:[0,1,0]
	s_waitcnt lgkmcnt(0)
	s_lshl_b32 s11, s11, 5
	v_pk_fma_f16 v14, v60, v57, v15 op_sel_hi:[1,0,1]
	v_pk_fma_f16 v12, v60, v57, v12 op_sel:[0,1,0]
	v_pk_fma_f16 v15, v61, v57, v25 op_sel_hi:[1,0,1]
	v_pk_fma_f16 v13, v61, v57, v13 op_sel:[0,1,0]
	s_add_i32 s4, s11, s4
	s_delay_alu instid0(SALU_CYCLE_1)
	s_cmp_ge_i32 s4, s34
	s_cbranch_scc1 .LBB20_23
; %bb.22:                               ;   in Loop: Header=BB20_13 Depth=1
	v_dual_mov_b32 v26, v3 :: v_dual_mov_b32 v27, v4
	v_mov_b32_e32 v25, v28
	s_branch .LBB20_13
.LBB20_23:
	v_mov_b32_e32 v2, v5
.LBB20_24:
	v_cmp_lt_i32_e32 vcc_lo, v33, v6
	s_cmp_lg_u64 s[24:25], 0
	s_cselect_b32 s2, -1, 0
	s_cmp_eq_u32 s14, 0
	v_cndmask_b32_e32 v5, v2, v33, vcc_lo
	v_cmp_lt_i32_e32 vcc_lo, v29, v6
	s_cselect_b32 s3, -1, 0
	s_delay_alu instid0(SALU_CYCLE_1) | instskip(SKIP_2) | instid1(VALU_DEP_2)
	s_and_b32 s2, s3, s2
	v_cndmask_b32_e32 v10, v2, v29, vcc_lo
	v_cmp_lt_i32_e32 vcc_lo, v30, v6
	v_lshlrev_b32_e32 v10, 2, v10
	v_dual_cndmask_b32 v16, v2, v30 :: v_dual_lshlrev_b32 v5, 2, v5
	v_cmp_lt_i32_e32 vcc_lo, v31, v6
	ds_bpermute_b32 v9, v5, v8
	ds_bpermute_b32 v5, v5, v28
	s_waitcnt lgkmcnt(0)
	v_dual_add_f32 v5, v28, v5 :: v_dual_lshlrev_b32 v16, 2, v16
	v_add_f32_e32 v8, v8, v9
	ds_bpermute_b32 v9, v10, v8
	ds_bpermute_b32 v10, v10, v5
	s_waitcnt lgkmcnt(0)
	v_add_f32_e32 v5, v5, v10
	ds_bpermute_b32 v10, v16, v5
	s_waitcnt lgkmcnt(0)
	v_dual_add_f32 v8, v8, v9 :: v_dual_add_f32 v5, v5, v10
	ds_bpermute_b32 v9, v16, v8
	v_cndmask_b32_e32 v16, v2, v31, vcc_lo
	v_cmp_lt_i32_e32 vcc_lo, v32, v6
	s_delay_alu instid0(VALU_DEP_2)
	v_lshlrev_b32_e32 v16, 2, v16
	v_cndmask_b32_e32 v2, v2, v32, vcc_lo
	s_and_b32 vcc_lo, exec_lo, s2
	s_mov_b32 s2, 0
	ds_bpermute_b32 v10, v16, v5
	v_lshlrev_b32_e32 v2, 2, v2
	s_waitcnt lgkmcnt(1)
	v_add_f32_e32 v8, v8, v9
	ds_bpermute_b32 v9, v16, v8
	s_waitcnt lgkmcnt(0)
	v_add_f32_e32 v6, v8, v9
	v_dual_add_f32 v8, v5, v10 :: v_dual_add_nc_u32 v9, s15, v7
	ds_bpermute_b32 v5, v2, v6
	ds_bpermute_b32 v2, v2, v8
	s_waitcnt lgkmcnt(0)
	v_dual_add_f32 v5, v6, v5 :: v_dual_add_f32 v6, v8, v2
	s_cbranch_vccnz .LBB20_26
; %bb.25:
	v_add_nc_u32_e32 v2, s15, v7
	s_delay_alu instid0(VALU_DEP_2)
	v_dual_mov_b32 v8, v6 :: v_dual_mov_b32 v7, v5
	s_and_not1_b32 vcc_lo, exec_lo, s2
	s_cbranch_vccz .LBB20_27
	s_branch .LBB20_28
.LBB20_26:
                                        ; implicit-def: $vgpr2
                                        ; implicit-def: $vgpr7_vgpr8
.LBB20_27:
	v_ashrrev_i32_e32 v10, 31, v9
	v_dual_max_f32 v2, v3, v3 :: v_dual_max_f32 v17, v4, v4
	s_delay_alu instid0(VALU_DEP_2) | instskip(NEXT) | instid1(VALU_DEP_1)
	v_lshlrev_b64 v[7:8], 2, v[9:10]
	v_add_co_u32 v7, vcc_lo, s24, v7
	s_delay_alu instid0(VALU_DEP_2) | instskip(SKIP_3) | instid1(VALU_DEP_1)
	v_add_co_ci_u32_e32 v8, vcc_lo, s25, v8, vcc_lo
	global_load_b64 v[7:8], v[7:8], off
	s_waitcnt vmcnt(0)
	v_max_f32_e32 v18, v8, v8
	v_dual_max_f32 v10, v7, v7 :: v_dual_max_f32 v17, v17, v18
	s_delay_alu instid0(VALU_DEP_1) | instskip(NEXT) | instid1(VALU_DEP_2)
	v_sub_f32_e32 v8, v8, v17
	v_max_f32_e32 v16, v2, v10
	s_delay_alu instid0(VALU_DEP_2) | instskip(NEXT) | instid1(VALU_DEP_2)
	v_dual_sub_f32 v4, v4, v17 :: v_dual_mul_f32 v19, 0x3fb8aa3b, v8
	v_sub_f32_e32 v3, v3, v16
	v_sub_f32_e32 v7, v7, v16
	s_delay_alu instid0(VALU_DEP_3) | instskip(NEXT) | instid1(VALU_DEP_4)
	v_mul_f32_e32 v18, 0x3fb8aa3b, v4
	v_fma_f32 v26, 0x3fb8aa3b, v8, -v19
	s_delay_alu instid0(VALU_DEP_4)
	v_mul_f32_e32 v2, 0x3fb8aa3b, v3
	v_cmp_ngt_f32_e32 vcc_lo, 0xc2ce8ed0, v3
	v_rndne_f32_e32 v27, v19
	v_fma_f32 v24, 0x3fb8aa3b, v4, -v18
	v_rndne_f32_e32 v25, v18
	v_fma_f32 v20, 0x3fb8aa3b, v3, -v2
	v_rndne_f32_e32 v21, v2
	v_dual_fmac_f32 v26, 0x32a5705f, v8 :: v_dual_sub_f32 v19, v19, v27
	v_fmac_f32_e32 v24, 0x32a5705f, v4
	s_delay_alu instid0(VALU_DEP_4) | instskip(NEXT) | instid1(VALU_DEP_4)
	v_fmac_f32_e32 v20, 0x32a5705f, v3
	v_sub_f32_e32 v2, v2, v21
	v_cvt_i32_f32_e32 v21, v21
	v_dual_sub_f32 v18, v18, v25 :: v_dual_add_f32 v19, v19, v26
	s_delay_alu instid0(VALU_DEP_3) | instskip(NEXT) | instid1(VALU_DEP_2)
	v_add_f32_e32 v2, v2, v20
	v_add_f32_e32 v18, v18, v24
	s_delay_alu instid0(VALU_DEP_3) | instskip(SKIP_1) | instid1(VALU_DEP_3)
	v_exp_f32_e32 v19, v19
	v_cvt_i32_f32_e32 v24, v27
	v_exp_f32_e32 v20, v2
	v_mov_b32_e32 v2, v9
	v_exp_f32_e32 v18, v18
	s_delay_alu instid0(TRANS32_DEP_3) | instid1(VALU_DEP_2)
	v_ldexp_f32 v19, v19, v24
	s_waitcnt_depctr 0xfff
	v_ldexp_f32 v9, v20, v21
	s_delay_alu instid0(VALU_DEP_1) | instskip(NEXT) | instid1(VALU_DEP_1)
	v_dual_mul_f32 v10, 0x3fb8aa3b, v7 :: v_dual_cndmask_b32 v9, 0, v9
	v_fma_f32 v22, 0x3fb8aa3b, v7, -v10
	v_rndne_f32_e32 v23, v10
	v_cmp_ngt_f32_e32 vcc_lo, 0xc2ce8ed0, v7
	s_delay_alu instid0(VALU_DEP_3) | instskip(NEXT) | instid1(VALU_DEP_3)
	v_fmac_f32_e32 v22, 0x32a5705f, v7
	v_sub_f32_e32 v10, v10, v23
	s_delay_alu instid0(VALU_DEP_1) | instskip(SKIP_2) | instid1(VALU_DEP_3)
	v_add_f32_e32 v10, v10, v22
	v_cvt_i32_f32_e32 v22, v23
	v_cvt_i32_f32_e32 v23, v25
	v_exp_f32_e32 v10, v10
	s_delay_alu instid0(VALU_DEP_1) | instskip(SKIP_2) | instid1(VALU_DEP_1)
	v_ldexp_f32 v18, v18, v23
	s_waitcnt_depctr 0xfff
	v_ldexp_f32 v10, v10, v22
	v_cndmask_b32_e32 v10, 0, v10, vcc_lo
	v_cmp_ngt_f32_e32 vcc_lo, 0xc2ce8ed0, v4
	v_cndmask_b32_e32 v18, 0, v18, vcc_lo
	v_cmp_ngt_f32_e32 vcc_lo, 0xc2ce8ed0, v8
	v_cndmask_b32_e32 v19, 0, v19, vcc_lo
	v_cmp_nlt_f32_e32 vcc_lo, 0x42b17218, v3
	v_cndmask_b32_e32 v9, 0x7f800000, v9, vcc_lo
	v_cmp_nlt_f32_e32 vcc_lo, 0x42b17218, v7
	;; [unrolled: 2-line block ×3, first 2 shown]
	v_dual_mov_b32 v3, v16 :: v_dual_mov_b32 v4, v17
	s_delay_alu instid0(VALU_DEP_3) | instskip(SKIP_2) | instid1(VALU_DEP_3)
	v_dual_fmac_f32 v7, v5, v9 :: v_dual_cndmask_b32 v10, 0x7f800000, v18
	v_cmp_nlt_f32_e32 vcc_lo, 0x42b17218, v8
	v_cvt_f16_f32_e32 v18, v9
	v_mov_b32_e32 v5, v7
	s_delay_alu instid0(VALU_DEP_4) | instskip(SKIP_1) | instid1(VALU_DEP_4)
	v_cvt_f16_f32_e32 v16, v10
	v_cndmask_b32_e32 v8, 0x7f800000, v19, vcc_lo
	v_pk_mul_f16 v14, v18, v14 op_sel_hi:[0,1]
	v_pk_mul_f16 v15, v18, v15 op_sel_hi:[0,1]
	s_delay_alu instid0(VALU_DEP_4) | instskip(NEXT) | instid1(VALU_DEP_4)
	v_pk_mul_f16 v12, v16, v12 op_sel_hi:[0,1]
	v_fmac_f32_e32 v8, v6, v10
	v_pk_mul_f16 v13, v16, v13 op_sel_hi:[0,1]
	s_delay_alu instid0(VALU_DEP_2)
	v_mov_b32_e32 v6, v8
.LBB20_28:
	s_load_b32 s1, s[0:1], 0xd4
	v_mov_b32_e32 v9, 1.0
	s_waitcnt lgkmcnt(0)
	s_cmp_lg_u32 s1, 1
	s_cselect_b32 s3, -1, 0
	s_cmp_eq_u32 s1, 1
	s_cselect_b32 s2, -1, 0
	s_and_b32 vcc_lo, exec_lo, s3
	s_cbranch_vccnz .LBB20_30
; %bb.29:
	v_div_scale_f32 v9, null, v5, v5, 1.0
	s_delay_alu instid0(VALU_DEP_1) | instskip(SKIP_2) | instid1(VALU_DEP_1)
	v_rcp_f32_e32 v10, v9
	s_waitcnt_depctr 0xfff
	v_fma_f32 v16, -v9, v10, 1.0
	v_fmac_f32_e32 v10, v16, v10
	v_div_scale_f32 v16, vcc_lo, 1.0, v5, 1.0
	s_delay_alu instid0(VALU_DEP_1) | instskip(NEXT) | instid1(VALU_DEP_1)
	v_mul_f32_e32 v17, v16, v10
	v_fma_f32 v18, -v9, v17, v16
	s_delay_alu instid0(VALU_DEP_1) | instskip(NEXT) | instid1(VALU_DEP_1)
	v_fmac_f32_e32 v17, v18, v10
	v_fma_f32 v9, -v9, v17, v16
	s_delay_alu instid0(VALU_DEP_1) | instskip(NEXT) | instid1(VALU_DEP_1)
	v_div_fmas_f32 v9, v9, v10, v17
	v_div_fixup_f32 v9, v9, v5, 1.0
.LBB20_30:
	v_mad_u64_u32 v[16:17], null, s12, s6, v[1:2]
	v_cvt_f32_f16_e32 v5, v14
	v_cmp_eq_u32_e32 vcc_lo, 0, v0
	v_lshrrev_b32_e32 v0, 16, v14
	v_cvt_f32_f16_e32 v10, v15
	s_delay_alu instid0(VALU_DEP_4) | instskip(SKIP_1) | instid1(VALU_DEP_4)
	v_mul_f32_e32 v14, v9, v5
	v_mad_u64_u32 v[17:18], null, v16, s7, v[2:3]
	v_cvt_f32_f16_e32 v0, v0
	s_delay_alu instid0(VALU_DEP_2) | instskip(SKIP_2) | instid1(VALU_DEP_4)
	v_mad_u64_u32 v[1:2], null, s1, v17, s[14:15]
	v_mov_b32_e32 v17, 0
	v_lshrrev_b32_e32 v2, 16, v15
	v_mul_f32_e32 v15, v9, v0
	s_delay_alu instid0(VALU_DEP_2) | instskip(SKIP_1) | instid1(VALU_DEP_1)
	v_cvt_f32_f16_e32 v2, v2
	v_lshl_add_u32 v16, v1, 7, v11
	v_lshlrev_b64 v[18:19], 2, v[16:17]
	v_mul_f32_e32 v16, v9, v10
	s_delay_alu instid0(VALU_DEP_4) | instskip(NEXT) | instid1(VALU_DEP_3)
	v_mul_f32_e32 v17, v9, v2
	v_add_co_u32 v9, s0, s28, v18
	s_delay_alu instid0(VALU_DEP_1)
	v_add_co_ci_u32_e64 v10, s0, s29, v19, s0
	s_and_b32 s0, vcc_lo, s3
	global_store_b128 v[9:10], v[14:17], off
	s_and_saveexec_b32 s3, s0
	s_cbranch_execz .LBB20_32
; %bb.31:
	v_ashrrev_i32_e32 v2, 31, v1
	s_delay_alu instid0(VALU_DEP_1) | instskip(SKIP_2) | instid1(VALU_DEP_3)
	v_lshlrev_b64 v[9:10], 3, v[1:2]
	v_mov_b32_e32 v2, v3
	v_mov_b32_e32 v3, v7
	v_add_co_u32 v9, vcc_lo, s30, v9
	s_delay_alu instid0(VALU_DEP_4)
	v_add_co_ci_u32_e32 v10, vcc_lo, s31, v10, vcc_lo
	global_store_b64 v[9:10], v[2:3], off
.LBB20_32:
	s_or_b32 exec_lo, exec_lo, s3
	v_mov_b32_e32 v2, 1.0
	s_and_not1_b32 vcc_lo, exec_lo, s2
	s_cbranch_vccnz .LBB20_34
; %bb.33:
	v_div_scale_f32 v0, null, v6, v6, 1.0
	s_delay_alu instid0(VALU_DEP_1) | instskip(SKIP_2) | instid1(VALU_DEP_1)
	v_rcp_f32_e32 v2, v0
	s_waitcnt_depctr 0xfff
	v_fma_f32 v3, -v0, v2, 1.0
	v_fmac_f32_e32 v2, v3, v2
	v_div_scale_f32 v3, vcc_lo, 1.0, v6, 1.0
	s_delay_alu instid0(VALU_DEP_1) | instskip(NEXT) | instid1(VALU_DEP_1)
	v_mul_f32_e32 v5, v3, v2
	v_fma_f32 v7, -v0, v5, v3
	s_delay_alu instid0(VALU_DEP_1) | instskip(NEXT) | instid1(VALU_DEP_1)
	v_fmac_f32_e32 v5, v7, v2
	v_fma_f32 v0, -v0, v5, v3
	s_delay_alu instid0(VALU_DEP_1) | instskip(NEXT) | instid1(VALU_DEP_1)
	v_div_fmas_f32 v0, v0, v2, v5
	v_div_fixup_f32 v2, v0, v6, 1.0
.LBB20_34:
	v_cvt_f32_f16_e32 v7, v12
	v_add_nc_u32_e32 v0, s1, v1
	v_cvt_f32_f16_e32 v10, v13
	v_mov_b32_e32 v6, 0
	v_lshrrev_b32_e32 v1, 16, v12
	v_mul_f32_e32 v9, v2, v7
	v_lshl_add_u32 v5, v0, 7, v11
	v_mul_f32_e32 v11, v2, v10
	v_lshrrev_b32_e32 v3, 16, v13
	v_cvt_f32_f16_e32 v1, v1
	s_delay_alu instid0(VALU_DEP_4) | instskip(NEXT) | instid1(VALU_DEP_3)
	v_lshlrev_b64 v[5:6], 2, v[5:6]
	v_cvt_f32_f16_e32 v3, v3
	s_delay_alu instid0(VALU_DEP_3) | instskip(NEXT) | instid1(VALU_DEP_3)
	v_mul_f32_e32 v10, v2, v1
	v_add_co_u32 v1, vcc_lo, s28, v5
	s_delay_alu instid0(VALU_DEP_3)
	v_mul_f32_e32 v12, v2, v3
	v_add_co_ci_u32_e32 v2, vcc_lo, s29, v6, vcc_lo
	global_store_b128 v[1:2], v[9:12], off
	s_and_saveexec_b32 s1, s0
	s_cbranch_execz .LBB20_36
; %bb.35:
	v_ashrrev_i32_e32 v1, 31, v0
	v_mov_b32_e32 v7, v4
	s_delay_alu instid0(VALU_DEP_2) | instskip(NEXT) | instid1(VALU_DEP_1)
	v_lshlrev_b64 v[0:1], 3, v[0:1]
	v_add_co_u32 v0, vcc_lo, s30, v0
	s_delay_alu instid0(VALU_DEP_2)
	v_add_co_ci_u32_e32 v1, vcc_lo, s31, v1, vcc_lo
	global_store_b64 v[0:1], v[7:8], off
.LBB20_36:
	s_nop 0
	s_sendmsg sendmsg(MSG_DEALLOC_VGPRS)
	s_endpgm
	.section	.rodata,"a",@progbits
	.p2align	6, 0x0
	.amdhsa_kernel _ZL15flash_attn_tileILi192ELi128ELi1ELi16ELb1EEvPKcS1_S1_S1_S1_PKiPfP15HIP_vector_typeIfLj2EEffffjfiS5_IjLj3EEiiiiiiiiiiiliiliiiiil
		.amdhsa_group_segment_fixed_size 11776
		.amdhsa_private_segment_fixed_size 0
		.amdhsa_kernarg_size 464
		.amdhsa_user_sgpr_count 13
		.amdhsa_user_sgpr_dispatch_ptr 0
		.amdhsa_user_sgpr_queue_ptr 0
		.amdhsa_user_sgpr_kernarg_segment_ptr 1
		.amdhsa_user_sgpr_dispatch_id 0
		.amdhsa_user_sgpr_private_segment_size 0
		.amdhsa_wavefront_size32 1
		.amdhsa_uses_dynamic_stack 0
		.amdhsa_enable_private_segment 0
		.amdhsa_system_sgpr_workgroup_id_x 1
		.amdhsa_system_sgpr_workgroup_id_y 1
		.amdhsa_system_sgpr_workgroup_id_z 1
		.amdhsa_system_sgpr_workgroup_info 0
		.amdhsa_system_vgpr_workitem_id 1
		.amdhsa_next_free_vgpr 94
		.amdhsa_next_free_sgpr 40
		.amdhsa_reserve_vcc 1
		.amdhsa_float_round_mode_32 0
		.amdhsa_float_round_mode_16_64 0
		.amdhsa_float_denorm_mode_32 3
		.amdhsa_float_denorm_mode_16_64 3
		.amdhsa_dx10_clamp 1
		.amdhsa_ieee_mode 1
		.amdhsa_fp16_overflow 0
		.amdhsa_workgroup_processor_mode 1
		.amdhsa_memory_ordered 1
		.amdhsa_forward_progress 0
		.amdhsa_shared_vgpr_count 0
		.amdhsa_exception_fp_ieee_invalid_op 0
		.amdhsa_exception_fp_denorm_src 0
		.amdhsa_exception_fp_ieee_div_zero 0
		.amdhsa_exception_fp_ieee_overflow 0
		.amdhsa_exception_fp_ieee_underflow 0
		.amdhsa_exception_fp_ieee_inexact 0
		.amdhsa_exception_int_div_zero 0
	.end_amdhsa_kernel
	.section	.text._ZL15flash_attn_tileILi192ELi128ELi1ELi16ELb1EEvPKcS1_S1_S1_S1_PKiPfP15HIP_vector_typeIfLj2EEffffjfiS5_IjLj3EEiiiiiiiiiiiliiliiiiil,"axG",@progbits,_ZL15flash_attn_tileILi192ELi128ELi1ELi16ELb1EEvPKcS1_S1_S1_S1_PKiPfP15HIP_vector_typeIfLj2EEffffjfiS5_IjLj3EEiiiiiiiiiiiliiliiiiil,comdat
.Lfunc_end20:
	.size	_ZL15flash_attn_tileILi192ELi128ELi1ELi16ELb1EEvPKcS1_S1_S1_S1_PKiPfP15HIP_vector_typeIfLj2EEffffjfiS5_IjLj3EEiiiiiiiiiiiliiliiiiil, .Lfunc_end20-_ZL15flash_attn_tileILi192ELi128ELi1ELi16ELb1EEvPKcS1_S1_S1_S1_PKiPfP15HIP_vector_typeIfLj2EEffffjfiS5_IjLj3EEiiiiiiiiiiiliiliiiiil
                                        ; -- End function
	.section	.AMDGPU.csdata,"",@progbits
; Kernel info:
; codeLenInByte = 11168
; NumSgprs: 42
; NumVgprs: 94
; ScratchSize: 0
; MemoryBound: 0
; FloatMode: 240
; IeeeMode: 1
; LDSByteSize: 11776 bytes/workgroup (compile time only)
; SGPRBlocks: 5
; VGPRBlocks: 11
; NumSGPRsForWavesPerEU: 42
; NumVGPRsForWavesPerEU: 94
; Occupancy: 16
; WaveLimiterHint : 1
; COMPUTE_PGM_RSRC2:SCRATCH_EN: 0
; COMPUTE_PGM_RSRC2:USER_SGPR: 13
; COMPUTE_PGM_RSRC2:TRAP_HANDLER: 0
; COMPUTE_PGM_RSRC2:TGID_X_EN: 1
; COMPUTE_PGM_RSRC2:TGID_Y_EN: 1
; COMPUTE_PGM_RSRC2:TGID_Z_EN: 1
; COMPUTE_PGM_RSRC2:TIDIG_COMP_CNT: 1
	.section	.text._ZL15flash_attn_tileILi192ELi128ELi4ELi8ELb1EEvPKcS1_S1_S1_S1_PKiPfP15HIP_vector_typeIfLj2EEffffjfiS5_IjLj3EEiiiiiiiiiiiliiliiiiil,"axG",@progbits,_ZL15flash_attn_tileILi192ELi128ELi4ELi8ELb1EEvPKcS1_S1_S1_S1_PKiPfP15HIP_vector_typeIfLj2EEffffjfiS5_IjLj3EEiiiiiiiiiiiliiliiiiil,comdat
	.globl	_ZL15flash_attn_tileILi192ELi128ELi4ELi8ELb1EEvPKcS1_S1_S1_S1_PKiPfP15HIP_vector_typeIfLj2EEffffjfiS5_IjLj3EEiiiiiiiiiiiliiliiiiil ; -- Begin function _ZL15flash_attn_tileILi192ELi128ELi4ELi8ELb1EEvPKcS1_S1_S1_S1_PKiPfP15HIP_vector_typeIfLj2EEffffjfiS5_IjLj3EEiiiiiiiiiiiliiliiiiil
	.p2align	8
	.type	_ZL15flash_attn_tileILi192ELi128ELi4ELi8ELb1EEvPKcS1_S1_S1_S1_PKiPfP15HIP_vector_typeIfLj2EEffffjfiS5_IjLj3EEiiiiiiiiiiiliiliiiiil,@function
_ZL15flash_attn_tileILi192ELi128ELi4ELi8ELb1EEvPKcS1_S1_S1_S1_PKiPfP15HIP_vector_typeIfLj2EEffffjfiS5_IjLj3EEiiiiiiiiiiiliiliiiiil: ; @_ZL15flash_attn_tileILi192ELi128ELi4ELi8ELb1EEvPKcS1_S1_S1_S1_PKiPfP15HIP_vector_typeIfLj2EEffffjfiS5_IjLj3EEiiiiiiiiiiiliiliiiiil
; %bb.0:
	s_clause 0x1
	s_load_b128 s[4:7], s[0:1], 0x5c
	s_load_b64 s[34:35], s[0:1], 0x80
	s_mov_b64 s[36:37], 0
	s_waitcnt lgkmcnt(0)
	s_ashr_i32 s2, s7, 31
	s_delay_alu instid0(SALU_CYCLE_1) | instskip(NEXT) | instid1(SALU_CYCLE_1)
	s_lshr_b32 s2, s2, 29
	s_add_i32 s2, s7, s2
	s_delay_alu instid0(SALU_CYCLE_1) | instskip(NEXT) | instid1(SALU_CYCLE_1)
	s_ashr_i32 s2, s2, 3
	v_cvt_f32_u32_e32 v1, s2
	s_sub_i32 s8, 0, s2
	s_delay_alu instid0(VALU_DEP_1) | instskip(SKIP_2) | instid1(VALU_DEP_1)
	v_rcp_iflag_f32_e32 v1, v1
	s_waitcnt_depctr 0xfff
	v_mul_f32_e32 v1, 0x4f7ffffe, v1
	v_cvt_u32_f32_e32 v1, v1
	s_delay_alu instid0(VALU_DEP_1) | instskip(NEXT) | instid1(VALU_DEP_1)
	v_readfirstlane_b32 s3, v1
	s_mul_i32 s8, s8, s3
	s_delay_alu instid0(SALU_CYCLE_1) | instskip(NEXT) | instid1(SALU_CYCLE_1)
	s_mul_hi_u32 s8, s3, s8
	s_add_i32 s3, s3, s8
	s_delay_alu instid0(SALU_CYCLE_1) | instskip(NEXT) | instid1(SALU_CYCLE_1)
	s_mul_hi_u32 s3, s15, s3
	s_mul_i32 s8, s3, s2
	s_add_i32 s9, s3, 1
	s_sub_i32 s8, s15, s8
	s_delay_alu instid0(SALU_CYCLE_1)
	s_sub_i32 s10, s8, s2
	s_cmp_ge_u32 s8, s2
	s_cselect_b32 s3, s9, s3
	s_cselect_b32 s8, s10, s8
	s_add_i32 s9, s3, 1
	s_cmp_ge_u32 s8, s2
	s_cselect_b32 s12, s9, s3
	s_abs_i32 s2, s35
	s_abs_i32 s11, s7
	v_cvt_f32_u32_e32 v1, s2
	s_sub_i32 s8, 0, s2
	s_lshl_b32 s9, s15, 3
	s_mul_i32 s10, s12, s7
	s_delay_alu instid0(VALU_DEP_1) | instskip(SKIP_3) | instid1(VALU_DEP_1)
	v_rcp_iflag_f32_e32 v1, v1
	s_sub_i32 s15, s9, s10
	s_waitcnt_depctr 0xfff
	v_mul_f32_e32 v1, 0x4f7ffffe, v1
	v_cvt_u32_f32_e32 v1, v1
	s_delay_alu instid0(VALU_DEP_1) | instskip(NEXT) | instid1(VALU_DEP_1)
	v_readfirstlane_b32 s3, v1
	s_mul_i32 s8, s8, s3
	s_delay_alu instid0(SALU_CYCLE_1) | instskip(NEXT) | instid1(SALU_CYCLE_1)
	s_mul_hi_u32 s8, s3, s8
	s_add_i32 s3, s3, s8
	s_xor_b32 s8, s7, s35
	s_mul_hi_u32 s3, s11, s3
	s_ashr_i32 s8, s8, 31
	s_mul_i32 s9, s3, s2
	s_add_i32 s10, s3, 1
	s_sub_i32 s9, s11, s9
	s_delay_alu instid0(SALU_CYCLE_1)
	s_sub_i32 s11, s9, s2
	s_cmp_ge_u32 s9, s2
	s_cselect_b32 s3, s10, s3
	s_cselect_b32 s9, s11, s9
	s_add_i32 s10, s3, 1
	s_cmp_ge_u32 s9, s2
	s_cselect_b32 s2, s10, s3
	s_delay_alu instid0(SALU_CYCLE_1) | instskip(NEXT) | instid1(SALU_CYCLE_1)
	s_xor_b32 s2, s2, s8
	s_sub_i32 s35, s2, s8
	s_clause 0x1
	s_load_b512 s[16:31], s[0:1], 0x0
	s_load_b64 s[2:3], s[0:1], 0xb8
	s_abs_i32 s33, s35
	s_delay_alu instid0(SALU_CYCLE_1) | instskip(NEXT) | instid1(VALU_DEP_1)
	v_cvt_f32_u32_e32 v1, s33
	v_rcp_iflag_f32_e32 v1, v1
	s_waitcnt_depctr 0xfff
	v_mul_f32_e32 v1, 0x4f7ffffe, v1
	s_waitcnt lgkmcnt(0)
	s_cmp_eq_u64 s[22:23], 0
	s_delay_alu instid0(VALU_DEP_1) | instskip(NEXT) | instid1(VALU_DEP_1)
	v_cvt_u32_f32_e32 v1, v1
	v_readfirstlane_b32 s38, v1
	s_cbranch_scc1 .LBB21_2
; %bb.1:
	s_abs_i32 s2, s2
	s_abs_i32 s10, s12
	v_cvt_f32_u32_e32 v1, s2
	s_sub_i32 s9, 0, s2
	s_delay_alu instid0(VALU_DEP_1) | instskip(SKIP_2) | instid1(VALU_DEP_1)
	v_rcp_iflag_f32_e32 v1, v1
	s_waitcnt_depctr 0xfff
	v_mul_f32_e32 v1, 0x4f7ffffe, v1
	v_cvt_u32_f32_e32 v1, v1
	s_delay_alu instid0(VALU_DEP_1) | instskip(NEXT) | instid1(VALU_DEP_1)
	v_readfirstlane_b32 s8, v1
	s_mul_i32 s9, s9, s8
	s_delay_alu instid0(SALU_CYCLE_1) | instskip(NEXT) | instid1(SALU_CYCLE_1)
	s_mul_hi_u32 s9, s8, s9
	s_add_i32 s11, s8, s9
	s_load_b64 s[8:9], s[0:1], 0xc8
	s_mul_hi_u32 s11, s10, s11
	s_delay_alu instid0(SALU_CYCLE_1) | instskip(NEXT) | instid1(SALU_CYCLE_1)
	s_mul_i32 s11, s11, s2
	s_sub_i32 s10, s10, s11
	s_ashr_i32 s11, s12, 31
	s_sub_i32 s36, s10, s2
	s_cmp_ge_u32 s10, s2
	s_cselect_b32 s10, s36, s10
	s_delay_alu instid0(SALU_CYCLE_1) | instskip(SKIP_2) | instid1(SALU_CYCLE_1)
	s_sub_i32 s36, s10, s2
	s_cmp_ge_u32 s10, s2
	s_cselect_b32 s2, s36, s10
	s_xor_b32 s2, s2, s11
	s_delay_alu instid0(SALU_CYCLE_1)
	s_sub_i32 s2, s2, s11
	s_waitcnt lgkmcnt(0)
	s_mul_i32 s9, s2, s9
	s_mul_hi_u32 s10, s2, s8
	s_ashr_i32 s11, s2, 31
	s_add_i32 s9, s10, s9
	s_mul_i32 s11, s11, s8
	s_mul_i32 s2, s2, s8
	s_add_i32 s9, s9, s11
	s_add_u32 s36, s22, s2
	s_addc_u32 s37, s23, s9
.LBB21_2:
	v_bfe_u32 v5, v0, 10, 10
	s_load_b128 s[8:11], s[0:1], 0x70
	v_and_b32_e32 v13, 0x3ff, v0
	s_delay_alu instid0(VALU_DEP_2) | instskip(SKIP_2) | instid1(VALU_DEP_3)
	v_lshrrev_b32_e32 v1, 1, v5
	v_lshlrev_b32_e32 v7, 2, v5
	v_mul_u32_u24_e32 v16, 0x180, v5
	v_lshl_add_u32 v12, s13, 2, v1
	s_delay_alu instid0(VALU_DEP_3) | instskip(NEXT) | instid1(VALU_DEP_2)
	v_and_b32_e32 v27, 4, v7
	v_mul_hi_u32 v1, s4, v12
	s_waitcnt lgkmcnt(0)
	s_mul_i32 s2, s12, s10
	s_mul_i32 s4, s15, s9
	s_delay_alu instid0(VALU_DEP_1) | instskip(NEXT) | instid1(VALU_DEP_1)
	v_add_nc_u32_e32 v1, v12, v1
	v_lshrrev_b32_e32 v1, s5, v1
	s_ashr_i32 s5, s2, 31
	s_add_u32 s2, s16, s2
	s_addc_u32 s5, s17, s5
	s_ashr_i32 s10, s4, 31
	v_mul_lo_u32 v1, v1, s6
	s_add_u32 s2, s2, s4
	s_addc_u32 s4, s5, s10
	s_ashr_i32 s5, s8, 31
	s_delay_alu instid0(SALU_CYCLE_1) | instskip(SKIP_1) | instid1(VALU_DEP_2)
	v_alignbit_b32 v3, s5, s8, 2
	s_lshr_b32 s5, s5, 2
	v_sub_nc_u32_e32 v6, v12, v1
	s_delay_alu instid0(VALU_DEP_1) | instskip(NEXT) | instid1(VALU_DEP_1)
	v_mad_u64_u32 v[1:2], null, v3, v6, 0
	v_mad_u64_u32 v[3:4], null, s5, v6, v[2:3]
	s_ashr_i32 s5, s9, 31
	s_delay_alu instid0(SALU_CYCLE_1) | instskip(SKIP_1) | instid1(SALU_CYCLE_1)
	v_alignbit_b32 v8, s5, s9, 2
	s_lshr_b32 s8, s5, 2
	v_mul_lo_u32 v9, s8, v27
	s_delay_alu instid0(VALU_DEP_3) | instskip(NEXT) | instid1(VALU_DEP_3)
	v_mov_b32_e32 v2, v3
	v_mad_u64_u32 v[3:4], null, v8, v27, 0
	s_load_b32 s8, s[0:1], 0x40
	s_delay_alu instid0(VALU_DEP_2) | instskip(SKIP_1) | instid1(VALU_DEP_3)
	v_lshlrev_b64 v[0:1], 2, v[1:2]
	v_lshlrev_b32_e32 v2, 4, v13
	v_or_b32_e32 v4, v4, v9
	s_delay_alu instid0(VALU_DEP_3) | instskip(NEXT) | instid1(VALU_DEP_4)
	v_add_co_u32 v8, vcc_lo, s2, v0
	v_add_co_ci_u32_e32 v9, vcc_lo, s4, v1, vcc_lo
	s_delay_alu instid0(VALU_DEP_3) | instskip(NEXT) | instid1(VALU_DEP_3)
	v_lshlrev_b64 v[0:1], 2, v[3:4]
	v_add_co_u32 v2, vcc_lo, v8, v2
	s_delay_alu instid0(VALU_DEP_3) | instskip(SKIP_1) | instid1(VALU_DEP_3)
	v_add_co_ci_u32_e32 v3, vcc_lo, 0, v9, vcc_lo
	v_lshlrev_b32_e32 v4, 1, v13
	v_add_co_u32 v0, vcc_lo, v2, v0
	s_delay_alu instid0(VALU_DEP_3) | instskip(SKIP_2) | instid1(SALU_CYCLE_1)
	v_add_co_ci_u32_e32 v1, vcc_lo, v3, v1, vcc_lo
	v_cmp_gt_u32_e32 vcc_lo, 16, v13
	s_mov_b32 s4, s9
	s_lshr_b64 s[4:5], s[4:5], 2
	global_load_b128 v[8:11], v[0:1], off
	s_waitcnt vmcnt(0) lgkmcnt(0)
	v_fma_mixlo_f16 v15, v10, s8, 0
	v_fma_mixlo_f16 v14, v8, s8, 0
	v_add_lshl_u32 v8, v16, v4, 2
	s_delay_alu instid0(VALU_DEP_3) | instskip(NEXT) | instid1(VALU_DEP_3)
	v_fma_mixhi_f16 v15, v11, s8, 0
	v_fma_mixhi_f16 v14, v9, s8, 0
	ds_store_b64 v8, v[14:15]
	s_and_saveexec_b32 s2, vcc_lo
	s_cbranch_execz .LBB21_4
; %bb.3:
	global_load_b128 v[14:17], v[0:1], off offset:512
	s_waitcnt vmcnt(0)
	v_fma_mixlo_f16 v1, v16, s8, 0
	v_fma_mixlo_f16 v0, v14, s8, 0
	s_delay_alu instid0(VALU_DEP_2) | instskip(NEXT) | instid1(VALU_DEP_2)
	v_fma_mixhi_f16 v1, v17, s8, 0
	v_fma_mixhi_f16 v0, v15, s8, 0
	ds_store_b64 v8, v[0:1] offset:256
.LBB21_4:
	s_or_b32 exec_lo, exec_lo, s2
	v_or_b32_e32 v14, 1, v7
	s_delay_alu instid0(VALU_DEP_1) | instskip(SKIP_1) | instid1(VALU_DEP_2)
	v_and_b32_e32 v10, 5, v14
	v_mul_u32_u24_e32 v16, 0x60, v14
	v_mad_u64_u32 v[0:1], null, s4, v10, 0
	s_delay_alu instid0(VALU_DEP_2) | instskip(NEXT) | instid1(VALU_DEP_2)
	v_add_lshl_u32 v4, v16, v4, 2
	v_mad_u64_u32 v[8:9], null, s5, v10, v[1:2]
	s_delay_alu instid0(VALU_DEP_1) | instskip(NEXT) | instid1(VALU_DEP_1)
	v_mov_b32_e32 v1, v8
	v_lshlrev_b64 v[0:1], 2, v[0:1]
	s_delay_alu instid0(VALU_DEP_1) | instskip(NEXT) | instid1(VALU_DEP_1)
	v_add_co_u32 v0, s2, v2, v0
	v_add_co_ci_u32_e64 v1, s2, v3, v1, s2
	global_load_b128 v[8:11], v[0:1], off
	s_waitcnt vmcnt(0)
	v_fma_mixlo_f16 v15, v10, s8, 0
	v_fma_mixlo_f16 v14, v8, s8, 0
	s_delay_alu instid0(VALU_DEP_2) | instskip(NEXT) | instid1(VALU_DEP_2)
	v_fma_mixhi_f16 v15, v11, s8, 0
	v_fma_mixhi_f16 v14, v9, s8, 0
	ds_store_b64 v4, v[14:15]
	s_and_saveexec_b32 s2, vcc_lo
	s_cbranch_execz .LBB21_6
; %bb.5:
	global_load_b128 v[8:11], v[0:1], off offset:512
	s_waitcnt vmcnt(0)
	v_fma_mixlo_f16 v1, v10, s8, 0
	v_fma_mixlo_f16 v0, v8, s8, 0
	s_delay_alu instid0(VALU_DEP_2) | instskip(NEXT) | instid1(VALU_DEP_2)
	v_fma_mixhi_f16 v1, v11, s8, 0
	v_fma_mixhi_f16 v0, v9, s8, 0
	ds_store_b64 v4, v[0:1] offset:256
.LBB21_6:
	s_or_b32 exec_lo, exec_lo, s2
	v_or_b32_e32 v0, 2, v7
	s_delay_alu instid0(VALU_DEP_1) | instskip(NEXT) | instid1(VALU_DEP_1)
	v_and_b32_e32 v10, 6, v0
	v_mad_u64_u32 v[0:1], null, s4, v10, 0
	s_delay_alu instid0(VALU_DEP_1) | instskip(NEXT) | instid1(VALU_DEP_1)
	v_mad_u64_u32 v[8:9], null, s5, v10, v[1:2]
	v_mov_b32_e32 v1, v8
	s_delay_alu instid0(VALU_DEP_1) | instskip(NEXT) | instid1(VALU_DEP_1)
	v_lshlrev_b64 v[0:1], 2, v[0:1]
	v_add_co_u32 v0, s2, v2, v0
	s_delay_alu instid0(VALU_DEP_1) | instskip(SKIP_4) | instid1(VALU_DEP_2)
	v_add_co_ci_u32_e64 v1, s2, v3, v1, s2
	global_load_b128 v[8:11], v[0:1], off
	s_waitcnt vmcnt(0)
	v_fma_mixlo_f16 v15, v10, s8, 0
	v_fma_mixlo_f16 v14, v8, s8, 0
	v_fma_mixhi_f16 v15, v11, s8, 0
	s_delay_alu instid0(VALU_DEP_2)
	v_fma_mixhi_f16 v14, v9, s8, 0
	ds_store_b64 v4, v[14:15] offset:384
	s_and_saveexec_b32 s2, vcc_lo
	s_cbranch_execz .LBB21_8
; %bb.7:
	global_load_b128 v[8:11], v[0:1], off offset:512
	s_waitcnt vmcnt(0)
	v_fma_mixlo_f16 v1, v10, s8, 0
	v_fma_mixlo_f16 v0, v8, s8, 0
	s_delay_alu instid0(VALU_DEP_2) | instskip(NEXT) | instid1(VALU_DEP_2)
	v_fma_mixhi_f16 v1, v11, s8, 0
	v_fma_mixhi_f16 v0, v9, s8, 0
	ds_store_b64 v4, v[0:1] offset:640
.LBB21_8:
	s_or_b32 exec_lo, exec_lo, s2
	v_or_b32_e32 v0, 3, v7
	s_delay_alu instid0(VALU_DEP_1) | instskip(NEXT) | instid1(VALU_DEP_1)
	v_and_b32_e32 v10, 7, v0
	v_mad_u64_u32 v[0:1], null, s4, v10, 0
	s_delay_alu instid0(VALU_DEP_1) | instskip(NEXT) | instid1(VALU_DEP_1)
	v_mad_u64_u32 v[8:9], null, s5, v10, v[1:2]
	v_mov_b32_e32 v1, v8
	s_delay_alu instid0(VALU_DEP_1) | instskip(NEXT) | instid1(VALU_DEP_1)
	v_lshlrev_b64 v[0:1], 2, v[0:1]
	v_add_co_u32 v0, s2, v2, v0
	s_delay_alu instid0(VALU_DEP_1) | instskip(SKIP_4) | instid1(VALU_DEP_2)
	v_add_co_ci_u32_e64 v1, s2, v3, v1, s2
	global_load_b128 v[8:11], v[0:1], off
	s_waitcnt vmcnt(0)
	v_fma_mixlo_f16 v3, v10, s8, 0
	v_fma_mixlo_f16 v2, v8, s8, 0
	v_fma_mixhi_f16 v3, v11, s8, 0
	s_delay_alu instid0(VALU_DEP_2)
	v_fma_mixhi_f16 v2, v9, s8, 0
	ds_store_b64 v4, v[2:3] offset:768
	s_and_saveexec_b32 s2, vcc_lo
	s_cbranch_execz .LBB21_10
; %bb.9:
	global_load_b128 v[0:3], v[0:1], off offset:512
	s_waitcnt vmcnt(0)
	v_fma_mixlo_f16 v9, v2, s8, 0
	v_fma_mixlo_f16 v8, v0, s8, 0
	s_delay_alu instid0(VALU_DEP_2) | instskip(NEXT) | instid1(VALU_DEP_2)
	v_fma_mixhi_f16 v9, v3, s8, 0
	v_fma_mixhi_f16 v8, v1, s8, 0
	ds_store_b64 v4, v[8:9] offset:1024
.LBB21_10:
	s_or_b32 exec_lo, exec_lo, s2
	s_cmp_eq_u64 s[26:27], 0
	s_waitcnt lgkmcnt(0)
	s_barrier
	buffer_gl0_inv
	s_cbranch_scc1 .LBB21_12
; %bb.11:
	s_load_b32 s2, s[0:1], 0xd0
	s_mov_b32 s5, 0
	s_waitcnt lgkmcnt(0)
	s_mul_i32 s2, s2, s12
	s_delay_alu instid0(SALU_CYCLE_1) | instskip(NEXT) | instid1(SALU_CYCLE_1)
	s_add_i32 s4, s2, s13
	s_lshl_b64 s[4:5], s[4:5], 2
	s_delay_alu instid0(SALU_CYCLE_1)
	s_add_u32 s4, s26, s4
	s_addc_u32 s5, s27, s5
	s_load_b32 s34, s[4:5], 0x0
.LBB21_12:
	v_mbcnt_lo_u32_b32 v29, -1, 0
	s_lshl_b32 s4, s14, 6
	s_waitcnt lgkmcnt(0)
	s_cmp_lt_i32 s4, s34
	s_cbranch_scc1 .LBB21_14
; %bb.13:
	v_mbcnt_lo_u32_b32 v8, -1, 0
	v_mov_b32_e32 v30, 32
	s_mov_b32 s2, 0
	s_mov_b32 s5, 0xfeffffff
	s_delay_alu instid0(VALU_DEP_2)
	v_xor_b32_e32 v59, 16, v8
	v_xor_b32_e32 v58, 8, v8
	v_xor_b32_e32 v57, 4, v8
	v_xor_b32_e32 v56, 2, v8
	v_xor_b32_e32 v55, 1, v8
	s_branch .LBB21_15
.LBB21_14:
	s_mov_b32 s2, -1
                                        ; implicit-def: $sgpr5
                                        ; implicit-def: $vgpr8
                                        ; implicit-def: $vgpr30
                                        ; implicit-def: $vgpr59
                                        ; implicit-def: $vgpr58
                                        ; implicit-def: $vgpr57
                                        ; implicit-def: $vgpr56
                                        ; implicit-def: $vgpr55
.LBB21_15:
	s_delay_alu instid0(SALU_CYCLE_1) | instskip(SKIP_2) | instid1(VALU_DEP_3)
	v_cndmask_b32_e64 v0, 0, 1, s2
	v_dual_mov_b32 v3, s5 :: v_dual_lshlrev_b32 v28, 2, v13
	v_dual_mov_b32 v4, s2 :: v_dual_mov_b32 v1, s5
	v_cmp_ne_u32_e32 vcc_lo, 1, v0
	v_dual_mov_b32 v46, s2 :: v_dual_mov_b32 v65, s2
	v_dual_mov_b32 v2, s5 :: v_dual_mov_b32 v63, s2
	;; [unrolled: 1-line block ×6, first 2 shown]
	v_mov_b32_e32 v42, s2
	s_cbranch_vccnz .LBB21_52
; %bb.16:
	s_clause 0x1
	s_load_b128 s[8:11], s[0:1], 0x98
	s_load_b64 s[16:17], s[0:1], 0x8c
	v_lshrrev_b32_e32 v0, 3, v13
	v_dual_mov_b32 v41, 0 :: v_dual_and_b32 v8, 28, v28
	s_sub_i32 s2, 0, s33
	s_abs_i32 s13, s15
	s_mul_i32 s2, s2, s38
	v_dual_mov_b32 v43, 0 :: v_dual_add_nc_u32 v0, v0, v7
	v_dual_mov_b32 v24, 0xfeffffff :: v_dual_lshlrev_b32 v1, 2, v8
	s_mul_hi_u32 s2, s38, s2
	s_ashr_i32 s23, s35, 31
	s_add_i32 s38, s38, s2
	s_ashr_i32 s35, s12, 31
	s_mul_hi_u32 s27, s13, s38
	v_mad_u32_u24 v3, 0x90, v0, v1
	v_lshrrev_b32_e32 v1, 4, v13
	s_ashr_i32 s22, s15, 31
	s_waitcnt lgkmcnt(0)
	s_ashr_i32 s5, s10, 2
	s_ashr_i32 s10, s16, 2
	s_mul_i32 s9, s12, s9
	s_mul_hi_u32 s16, s12, s8
	s_mul_i32 s39, s35, s8
	s_add_i32 s9, s16, s9
	s_mul_i32 s8, s12, s8
	s_ashr_i32 s26, s3, 1
	s_load_b64 s[2:3], s[0:1], 0xa8
	s_mul_i32 s38, s27, s33
	s_add_i32 s9, s9, s39
	s_add_u32 s16, s18, s8
	s_load_b32 s8, s[0:1], 0x54
	s_addc_u32 s18, s19, s9
	s_sub_i32 s13, s13, s38
	v_lshl_add_u32 v7, v5, 1, v1
	s_xor_b32 s9, s22, s23
	s_add_i32 s19, s27, 1
	s_sub_i32 s22, s13, s33
	s_cmp_ge_u32 s13, s33
	v_dual_mov_b32 v42, 0 :: v_dual_and_b32 v9, 60, v28
	s_cselect_b32 s19, s19, s27
	s_cselect_b32 s13, s22, s13
	v_mul_lo_u32 v0, s10, v0
	v_mul_lo_u32 v4, s5, v7
	s_add_i32 s22, s19, 1
	s_cmp_ge_u32 s13, s33
	v_dual_mov_b32 v47, 0 :: v_dual_lshlrev_b32 v10, 2, v9
	s_cselect_b32 s13, s22, s19
	v_mad_u64_u32 v[14:15], null, v6, s26, v[13:14]
	s_xor_b32 s13, s13, s9
	v_lshl_add_u32 v2, s10, 5, v0
	s_sub_i32 s19, s13, s9
	v_lshl_or_b32 v7, v7, 8, v10
	v_lshl_add_u32 v6, s5, 4, v4
	s_mul_i32 s9, s19, s17
	s_waitcnt lgkmcnt(0)
	s_mul_i32 s3, s12, s3
	s_mul_hi_u32 s22, s12, s2
	s_ashr_i32 s13, s9, 31
	s_add_u32 s9, s16, s9
	v_dual_mov_b32 v30, 32 :: v_dual_add_nc_u32 v31, 0x3000, v3
	v_ashrrev_i32_e32 v1, 31, v0
	v_dual_mov_b32 v45, 0 :: v_dual_add_nc_u32 v32, 0x4200, v3
	v_ashrrev_i32_e32 v3, 31, v2
	v_mul_u32_u24_e32 v34, 0x600, v5
	v_lshl_add_u32 v35, v5, 9, 0x5400
	v_dual_mov_b32 v44, 0 :: v_dual_add_nc_u32 v37, 0x3000, v7
	v_ashrrev_i32_e32 v5, 31, v4
	v_dual_mov_b32 v49, 0 :: v_dual_add_nc_u32 v38, 0x4000, v7
	v_ashrrev_i32_e32 v7, 31, v6
	s_mul_i32 s35, s35, s2
	s_addc_u32 s13, s18, s13
	s_add_i32 s3, s22, s3
	s_mul_i32 s2, s12, s2
	s_add_i32 s3, s3, s35
	s_mul_i32 s19, s19, s11
	s_add_u32 s2, s20, s2
	s_addc_u32 s3, s21, s3
	s_ashr_i32 s16, s19, 31
	v_lshlrev_b64 v[15:16], 2, v[0:1]
	v_lshlrev_b64 v[17:18], 2, v[2:3]
	v_lshlrev_b64 v[19:20], 2, v[4:5]
	v_lshlrev_b64 v[21:22], 2, v[6:7]
	s_add_u32 s11, s2, s19
	v_mul_u32_u24_e32 v33, 0x90, v13
	v_dual_mov_b32 v25, 0xfeffffff :: v_dual_lshlrev_b32 v36, 3, v13
	v_dual_mov_b32 v48, 0 :: v_dual_lshlrev_b32 v39, 2, v8
	;; [unrolled: 1-line block ×3, first 2 shown]
	v_dual_mov_b32 v46, 0 :: v_dual_mov_b32 v53, 0xfeffffff
	v_dual_mov_b32 v52, 0 :: v_dual_mov_b32 v51, 0
	v_mov_b32_e32 v50, 0
	s_addc_u32 s16, s3, s16
	s_add_u32 s2, s0, 0xd0
	s_addc_u32 s3, s1, 0
	s_mov_b32 s17, 0xbbbac73d
.LBB21_17:                              ; =>This Inner Loop Header: Depth=1
	s_mul_hi_i32 s19, s4, s10
	s_mul_i32 s18, s4, s10
	v_mov_b32_e32 v26, 0
	s_lshl_b64 s[18:19], s[18:19], 2
	v_mov_b32_e32 v54, 0
	s_add_u32 s18, s9, s18
	s_addc_u32 s19, s13, s19
	v_add_co_u32 v0, vcc_lo, s18, v15
	v_add_co_ci_u32_e32 v1, vcc_lo, s19, v16, vcc_lo
	v_add_co_u32 v2, vcc_lo, s18, v17
	v_add_co_ci_u32_e32 v3, vcc_lo, s19, v18, vcc_lo
	s_delay_alu instid0(VALU_DEP_4) | instskip(NEXT) | instid1(VALU_DEP_4)
	v_add_co_u32 v0, vcc_lo, v0, v39
	v_add_co_ci_u32_e32 v1, vcc_lo, 0, v1, vcc_lo
	s_delay_alu instid0(VALU_DEP_4) | instskip(NEXT) | instid1(VALU_DEP_4)
	v_add_co_u32 v2, vcc_lo, v2, v39
	v_add_co_ci_u32_e32 v3, vcc_lo, 0, v3, vcc_lo
	s_clause 0x1
	global_load_b128 v[4:7], v[0:1], off
	global_load_b128 v[8:11], v[2:3], off
	s_waitcnt vmcnt(1)
	ds_store_b128 v31, v[4:7]
	s_waitcnt vmcnt(0)
	ds_store_b128 v32, v[8:11]
	s_waitcnt lgkmcnt(0)
	s_barrier
	buffer_gl0_inv
	ds_load_b128 v[55:58], v33 offset:12288
	ds_load_b128 v[59:62], v34
	ds_load_b128 v[63:66], v34 offset:384
	ds_load_b128 v[67:70], v34 offset:768
	v_dual_mov_b32 v8, 0 :: v_dual_mov_b32 v9, 0
	ds_load_b128 v[71:74], v34 offset:1152
	ds_load_b128 v[75:78], v33 offset:16896
	v_dual_mov_b32 v6, 0 :: v_dual_mov_b32 v7, 0
	v_dual_mov_b32 v4, 0 :: v_dual_mov_b32 v5, 0
	s_waitcnt lgkmcnt(4)
	;;#ASMSTART
	v_dot2_f32_f16 v8, v55, v59, v8
	;;#ASMEND
	;;#ASMSTART
	v_dot2_f32_f16 v8, v56, v60, v8
	;;#ASMEND
	;;#ASMSTART
	v_dot2_f32_f16 v8, v57, v61, v8
	;;#ASMEND
	;;#ASMSTART
	v_dot2_f32_f16 v8, v58, v62, v8
	;;#ASMEND
	s_waitcnt lgkmcnt(3)
	;;#ASMSTART
	v_dot2_f32_f16 v6, v55, v63, v6
	;;#ASMEND
	;;#ASMSTART
	v_dot2_f32_f16 v6, v56, v64, v6
	;;#ASMEND
	;;#ASMSTART
	v_dot2_f32_f16 v6, v57, v65, v6
	;;#ASMEND
	;;#ASMSTART
	v_dot2_f32_f16 v6, v58, v66, v6
	;;#ASMEND
	s_waitcnt lgkmcnt(2)
	;;#ASMSTART
	v_dot2_f32_f16 v4, v55, v67, v4
	;;#ASMEND
	;;#ASMSTART
	v_dot2_f32_f16 v4, v56, v68, v4
	;;#ASMEND
	;;#ASMSTART
	v_dot2_f32_f16 v4, v57, v69, v4
	;;#ASMEND
	;;#ASMSTART
	v_dot2_f32_f16 v4, v58, v70, v4
	;;#ASMEND
	s_waitcnt lgkmcnt(1)
	;;#ASMSTART
	v_dot2_f32_f16 v26, v55, v71, v26
	;;#ASMEND
	;;#ASMSTART
	v_dot2_f32_f16 v26, v56, v72, v26
	;;#ASMEND
	;;#ASMSTART
	v_dot2_f32_f16 v26, v57, v73, v26
	;;#ASMEND
	;;#ASMSTART
	v_dot2_f32_f16 v26, v58, v74, v26
	;;#ASMEND
	s_waitcnt lgkmcnt(0)
	;;#ASMSTART
	v_dot2_f32_f16 v9, v75, v59, v9
	;;#ASMEND
	;;#ASMSTART
	v_dot2_f32_f16 v9, v76, v60, v9
	;;#ASMEND
	;;#ASMSTART
	v_dot2_f32_f16 v9, v77, v61, v9
	;;#ASMEND
	;;#ASMSTART
	v_dot2_f32_f16 v9, v78, v62, v9
	;;#ASMEND
	;;#ASMSTART
	v_dot2_f32_f16 v7, v75, v63, v7
	;;#ASMEND
	;;#ASMSTART
	v_dot2_f32_f16 v7, v76, v64, v7
	;;#ASMEND
	;; [unrolled: 3-line block ×12, first 2 shown]
	ds_load_b128 v[55:58], v33 offset:12304
	ds_load_b128 v[59:62], v34 offset:16
	;; [unrolled: 1-line block ×6, first 2 shown]
	s_waitcnt lgkmcnt(4)
	;;#ASMSTART
	v_dot2_f32_f16 v8, v55, v59, v8
	;;#ASMEND
	;;#ASMSTART
	v_dot2_f32_f16 v8, v56, v60, v8
	;;#ASMEND
	;;#ASMSTART
	v_dot2_f32_f16 v8, v57, v61, v8
	;;#ASMEND
	;;#ASMSTART
	v_dot2_f32_f16 v8, v58, v62, v8
	;;#ASMEND
	s_waitcnt lgkmcnt(3)
	;;#ASMSTART
	v_dot2_f32_f16 v6, v55, v63, v6
	;;#ASMEND
	;;#ASMSTART
	v_dot2_f32_f16 v6, v56, v64, v6
	;;#ASMEND
	;;#ASMSTART
	v_dot2_f32_f16 v6, v57, v65, v6
	;;#ASMEND
	;;#ASMSTART
	v_dot2_f32_f16 v6, v58, v66, v6
	;;#ASMEND
	;; [unrolled: 13-line block ×5, first 2 shown]
	;;#ASMSTART
	v_dot2_f32_f16 v7, v75, v63, v7
	;;#ASMEND
	;;#ASMSTART
	v_dot2_f32_f16 v7, v76, v64, v7
	;;#ASMEND
	;; [unrolled: 3-line block ×12, first 2 shown]
	ds_load_b128 v[55:58], v33 offset:12320
	ds_load_b128 v[59:62], v34 offset:32
	;; [unrolled: 1-line block ×6, first 2 shown]
	s_waitcnt lgkmcnt(4)
	;;#ASMSTART
	v_dot2_f32_f16 v8, v55, v59, v8
	;;#ASMEND
	;;#ASMSTART
	v_dot2_f32_f16 v8, v56, v60, v8
	;;#ASMEND
	;;#ASMSTART
	v_dot2_f32_f16 v8, v57, v61, v8
	;;#ASMEND
	;;#ASMSTART
	v_dot2_f32_f16 v8, v58, v62, v8
	;;#ASMEND
	s_waitcnt lgkmcnt(3)
	;;#ASMSTART
	v_dot2_f32_f16 v6, v55, v63, v6
	;;#ASMEND
	;;#ASMSTART
	v_dot2_f32_f16 v6, v56, v64, v6
	;;#ASMEND
	;;#ASMSTART
	v_dot2_f32_f16 v6, v57, v65, v6
	;;#ASMEND
	;;#ASMSTART
	v_dot2_f32_f16 v6, v58, v66, v6
	;;#ASMEND
	;; [unrolled: 13-line block ×5, first 2 shown]
	;;#ASMSTART
	v_dot2_f32_f16 v7, v75, v63, v7
	;;#ASMEND
	;;#ASMSTART
	v_dot2_f32_f16 v7, v76, v64, v7
	;;#ASMEND
	;; [unrolled: 3-line block ×12, first 2 shown]
	ds_load_b128 v[55:58], v33 offset:12336
	ds_load_b128 v[59:62], v34 offset:48
	;; [unrolled: 1-line block ×6, first 2 shown]
	s_waitcnt lgkmcnt(4)
	;;#ASMSTART
	v_dot2_f32_f16 v8, v55, v59, v8
	;;#ASMEND
	;;#ASMSTART
	v_dot2_f32_f16 v8, v56, v60, v8
	;;#ASMEND
	;;#ASMSTART
	v_dot2_f32_f16 v8, v57, v61, v8
	;;#ASMEND
	;;#ASMSTART
	v_dot2_f32_f16 v8, v58, v62, v8
	;;#ASMEND
	s_waitcnt lgkmcnt(3)
	;;#ASMSTART
	v_dot2_f32_f16 v6, v55, v63, v6
	;;#ASMEND
	;;#ASMSTART
	v_dot2_f32_f16 v6, v56, v64, v6
	;;#ASMEND
	;;#ASMSTART
	v_dot2_f32_f16 v6, v57, v65, v6
	;;#ASMEND
	;;#ASMSTART
	v_dot2_f32_f16 v6, v58, v66, v6
	;;#ASMEND
	;; [unrolled: 13-line block ×5, first 2 shown]
	;;#ASMSTART
	v_dot2_f32_f16 v7, v75, v63, v7
	;;#ASMEND
	;;#ASMSTART
	v_dot2_f32_f16 v7, v76, v64, v7
	;;#ASMEND
	;; [unrolled: 3-line block ×12, first 2 shown]
	ds_load_b128 v[55:58], v33 offset:12352
	ds_load_b128 v[59:62], v34 offset:64
	;; [unrolled: 1-line block ×6, first 2 shown]
	s_waitcnt lgkmcnt(4)
	;;#ASMSTART
	v_dot2_f32_f16 v8, v55, v59, v8
	;;#ASMEND
	;;#ASMSTART
	v_dot2_f32_f16 v8, v56, v60, v8
	;;#ASMEND
	;;#ASMSTART
	v_dot2_f32_f16 v8, v57, v61, v8
	;;#ASMEND
	;;#ASMSTART
	v_dot2_f32_f16 v8, v58, v62, v8
	;;#ASMEND
	s_waitcnt lgkmcnt(3)
	;;#ASMSTART
	v_dot2_f32_f16 v6, v55, v63, v6
	;;#ASMEND
	;;#ASMSTART
	v_dot2_f32_f16 v6, v56, v64, v6
	;;#ASMEND
	;;#ASMSTART
	v_dot2_f32_f16 v6, v57, v65, v6
	;;#ASMEND
	;;#ASMSTART
	v_dot2_f32_f16 v6, v58, v66, v6
	;;#ASMEND
	s_waitcnt lgkmcnt(2)
	;;#ASMSTART
	v_dot2_f32_f16 v4, v55, v67, v4
	;;#ASMEND
	;;#ASMSTART
	v_dot2_f32_f16 v4, v56, v68, v4
	;;#ASMEND
	;;#ASMSTART
	v_dot2_f32_f16 v4, v57, v69, v4
	;;#ASMEND
	;;#ASMSTART
	v_dot2_f32_f16 v4, v58, v70, v4
	;;#ASMEND
	s_waitcnt lgkmcnt(1)
	;;#ASMSTART
	v_dot2_f32_f16 v26, v55, v71, v26
	;;#ASMEND
	;;#ASMSTART
	v_dot2_f32_f16 v26, v56, v72, v26
	;;#ASMEND
	;;#ASMSTART
	v_dot2_f32_f16 v26, v57, v73, v26
	;;#ASMEND
	;;#ASMSTART
	v_dot2_f32_f16 v26, v58, v74, v26
	;;#ASMEND
	s_waitcnt lgkmcnt(0)
	;;#ASMSTART
	v_dot2_f32_f16 v9, v75, v59, v9
	;;#ASMEND
	;;#ASMSTART
	v_dot2_f32_f16 v9, v76, v60, v9
	;;#ASMEND
	;;#ASMSTART
	v_dot2_f32_f16 v9, v77, v61, v9
	;;#ASMEND
	;;#ASMSTART
	v_dot2_f32_f16 v9, v78, v62, v9
	;;#ASMEND
	;;#ASMSTART
	v_dot2_f32_f16 v7, v75, v63, v7
	;;#ASMEND
	;;#ASMSTART
	v_dot2_f32_f16 v7, v76, v64, v7
	;;#ASMEND
	;; [unrolled: 3-line block ×12, first 2 shown]
	ds_load_b128 v[55:58], v33 offset:12368
	ds_load_b128 v[59:62], v34 offset:80
	;; [unrolled: 1-line block ×6, first 2 shown]
	s_waitcnt lgkmcnt(4)
	;;#ASMSTART
	v_dot2_f32_f16 v8, v55, v59, v8
	;;#ASMEND
	;;#ASMSTART
	v_dot2_f32_f16 v8, v56, v60, v8
	;;#ASMEND
	;;#ASMSTART
	v_dot2_f32_f16 v8, v57, v61, v8
	;;#ASMEND
	;;#ASMSTART
	v_dot2_f32_f16 v8, v58, v62, v8
	;;#ASMEND
	s_waitcnt lgkmcnt(3)
	;;#ASMSTART
	v_dot2_f32_f16 v6, v55, v63, v6
	;;#ASMEND
	;;#ASMSTART
	v_dot2_f32_f16 v6, v56, v64, v6
	;;#ASMEND
	;;#ASMSTART
	v_dot2_f32_f16 v6, v57, v65, v6
	;;#ASMEND
	;;#ASMSTART
	v_dot2_f32_f16 v6, v58, v66, v6
	;;#ASMEND
	;; [unrolled: 13-line block ×5, first 2 shown]
	;;#ASMSTART
	v_dot2_f32_f16 v7, v75, v63, v7
	;;#ASMEND
	;;#ASMSTART
	v_dot2_f32_f16 v7, v76, v64, v7
	;;#ASMEND
	;; [unrolled: 3-line block ×12, first 2 shown]
	ds_load_b128 v[55:58], v33 offset:12384
	ds_load_b128 v[59:62], v34 offset:96
	;; [unrolled: 1-line block ×6, first 2 shown]
	s_waitcnt lgkmcnt(4)
	;;#ASMSTART
	v_dot2_f32_f16 v8, v55, v59, v8
	;;#ASMEND
	;;#ASMSTART
	v_dot2_f32_f16 v8, v56, v60, v8
	;;#ASMEND
	;;#ASMSTART
	v_dot2_f32_f16 v8, v57, v61, v8
	;;#ASMEND
	;;#ASMSTART
	v_dot2_f32_f16 v8, v58, v62, v8
	;;#ASMEND
	s_waitcnt lgkmcnt(3)
	;;#ASMSTART
	v_dot2_f32_f16 v6, v55, v63, v6
	;;#ASMEND
	;;#ASMSTART
	v_dot2_f32_f16 v6, v56, v64, v6
	;;#ASMEND
	;;#ASMSTART
	v_dot2_f32_f16 v6, v57, v65, v6
	;;#ASMEND
	;;#ASMSTART
	v_dot2_f32_f16 v6, v58, v66, v6
	;;#ASMEND
	;; [unrolled: 13-line block ×5, first 2 shown]
	;;#ASMSTART
	v_dot2_f32_f16 v7, v75, v63, v7
	;;#ASMEND
	;;#ASMSTART
	v_dot2_f32_f16 v7, v76, v64, v7
	;;#ASMEND
	;; [unrolled: 3-line block ×12, first 2 shown]
	ds_load_b128 v[55:58], v33 offset:12400
	ds_load_b128 v[59:62], v34 offset:112
	;; [unrolled: 1-line block ×6, first 2 shown]
	s_waitcnt lgkmcnt(4)
	;;#ASMSTART
	v_dot2_f32_f16 v8, v55, v59, v8
	;;#ASMEND
	;;#ASMSTART
	v_dot2_f32_f16 v8, v56, v60, v8
	;;#ASMEND
	;;#ASMSTART
	v_dot2_f32_f16 v8, v57, v61, v8
	;;#ASMEND
	;;#ASMSTART
	v_dot2_f32_f16 v8, v58, v62, v8
	;;#ASMEND
	s_waitcnt lgkmcnt(3)
	;;#ASMSTART
	v_dot2_f32_f16 v6, v55, v63, v6
	;;#ASMEND
	;;#ASMSTART
	v_dot2_f32_f16 v6, v56, v64, v6
	;;#ASMEND
	;;#ASMSTART
	v_dot2_f32_f16 v6, v57, v65, v6
	;;#ASMEND
	;;#ASMSTART
	v_dot2_f32_f16 v6, v58, v66, v6
	;;#ASMEND
	;; [unrolled: 13-line block ×5, first 2 shown]
	;;#ASMSTART
	v_dot2_f32_f16 v7, v75, v63, v7
	;;#ASMEND
	;;#ASMSTART
	v_dot2_f32_f16 v7, v76, v64, v7
	;;#ASMEND
	;; [unrolled: 3-line block ×12, first 2 shown]
	s_barrier
	buffer_gl0_inv
	s_clause 0x1
	global_load_b128 v[55:58], v[0:1], off offset:128
	global_load_b128 v[59:62], v[2:3], off offset:128
	s_waitcnt vmcnt(1)
	ds_store_b128 v31, v[55:58]
	s_waitcnt vmcnt(0)
	ds_store_b128 v32, v[59:62]
	s_waitcnt lgkmcnt(0)
	s_barrier
	buffer_gl0_inv
	ds_load_b128 v[55:58], v33 offset:12288
	ds_load_b128 v[59:62], v34 offset:128
	;; [unrolled: 1-line block ×6, first 2 shown]
	s_waitcnt lgkmcnt(4)
	;;#ASMSTART
	v_dot2_f32_f16 v8, v55, v59, v8
	;;#ASMEND
	;;#ASMSTART
	v_dot2_f32_f16 v8, v56, v60, v8
	;;#ASMEND
	;;#ASMSTART
	v_dot2_f32_f16 v8, v57, v61, v8
	;;#ASMEND
	;;#ASMSTART
	v_dot2_f32_f16 v8, v58, v62, v8
	;;#ASMEND
	s_waitcnt lgkmcnt(3)
	;;#ASMSTART
	v_dot2_f32_f16 v6, v55, v63, v6
	;;#ASMEND
	;;#ASMSTART
	v_dot2_f32_f16 v6, v56, v64, v6
	;;#ASMEND
	;;#ASMSTART
	v_dot2_f32_f16 v6, v57, v65, v6
	;;#ASMEND
	;;#ASMSTART
	v_dot2_f32_f16 v6, v58, v66, v6
	;;#ASMEND
	;; [unrolled: 13-line block ×5, first 2 shown]
	;;#ASMSTART
	v_dot2_f32_f16 v7, v75, v63, v7
	;;#ASMEND
	;;#ASMSTART
	v_dot2_f32_f16 v7, v76, v64, v7
	;;#ASMEND
	;; [unrolled: 3-line block ×12, first 2 shown]
	ds_load_b128 v[55:58], v33 offset:12304
	ds_load_b128 v[59:62], v34 offset:144
	;; [unrolled: 1-line block ×6, first 2 shown]
	s_waitcnt lgkmcnt(4)
	;;#ASMSTART
	v_dot2_f32_f16 v8, v55, v59, v8
	;;#ASMEND
	;;#ASMSTART
	v_dot2_f32_f16 v8, v56, v60, v8
	;;#ASMEND
	;;#ASMSTART
	v_dot2_f32_f16 v8, v57, v61, v8
	;;#ASMEND
	;;#ASMSTART
	v_dot2_f32_f16 v8, v58, v62, v8
	;;#ASMEND
	s_waitcnt lgkmcnt(3)
	;;#ASMSTART
	v_dot2_f32_f16 v6, v55, v63, v6
	;;#ASMEND
	;;#ASMSTART
	v_dot2_f32_f16 v6, v56, v64, v6
	;;#ASMEND
	;;#ASMSTART
	v_dot2_f32_f16 v6, v57, v65, v6
	;;#ASMEND
	;;#ASMSTART
	v_dot2_f32_f16 v6, v58, v66, v6
	;;#ASMEND
	;; [unrolled: 13-line block ×5, first 2 shown]
	;;#ASMSTART
	v_dot2_f32_f16 v7, v75, v63, v7
	;;#ASMEND
	;;#ASMSTART
	v_dot2_f32_f16 v7, v76, v64, v7
	;;#ASMEND
	;; [unrolled: 3-line block ×12, first 2 shown]
	ds_load_b128 v[55:58], v33 offset:12320
	ds_load_b128 v[59:62], v34 offset:160
	;; [unrolled: 1-line block ×6, first 2 shown]
	s_waitcnt lgkmcnt(4)
	;;#ASMSTART
	v_dot2_f32_f16 v8, v55, v59, v8
	;;#ASMEND
	;;#ASMSTART
	v_dot2_f32_f16 v8, v56, v60, v8
	;;#ASMEND
	;;#ASMSTART
	v_dot2_f32_f16 v8, v57, v61, v8
	;;#ASMEND
	;;#ASMSTART
	v_dot2_f32_f16 v8, v58, v62, v8
	;;#ASMEND
	s_waitcnt lgkmcnt(3)
	;;#ASMSTART
	v_dot2_f32_f16 v6, v55, v63, v6
	;;#ASMEND
	;;#ASMSTART
	v_dot2_f32_f16 v6, v56, v64, v6
	;;#ASMEND
	;;#ASMSTART
	v_dot2_f32_f16 v6, v57, v65, v6
	;;#ASMEND
	;;#ASMSTART
	v_dot2_f32_f16 v6, v58, v66, v6
	;;#ASMEND
	;; [unrolled: 13-line block ×5, first 2 shown]
	;;#ASMSTART
	v_dot2_f32_f16 v7, v75, v63, v7
	;;#ASMEND
	;;#ASMSTART
	v_dot2_f32_f16 v7, v76, v64, v7
	;;#ASMEND
	;; [unrolled: 3-line block ×12, first 2 shown]
	ds_load_b128 v[55:58], v33 offset:12336
	ds_load_b128 v[59:62], v34 offset:176
	;; [unrolled: 1-line block ×6, first 2 shown]
	s_waitcnt lgkmcnt(4)
	;;#ASMSTART
	v_dot2_f32_f16 v8, v55, v59, v8
	;;#ASMEND
	;;#ASMSTART
	v_dot2_f32_f16 v8, v56, v60, v8
	;;#ASMEND
	;;#ASMSTART
	v_dot2_f32_f16 v8, v57, v61, v8
	;;#ASMEND
	;;#ASMSTART
	v_dot2_f32_f16 v8, v58, v62, v8
	;;#ASMEND
	s_waitcnt lgkmcnt(3)
	;;#ASMSTART
	v_dot2_f32_f16 v6, v55, v63, v6
	;;#ASMEND
	;;#ASMSTART
	v_dot2_f32_f16 v6, v56, v64, v6
	;;#ASMEND
	;;#ASMSTART
	v_dot2_f32_f16 v6, v57, v65, v6
	;;#ASMEND
	;;#ASMSTART
	v_dot2_f32_f16 v6, v58, v66, v6
	;;#ASMEND
	s_waitcnt lgkmcnt(2)
	;;#ASMSTART
	v_dot2_f32_f16 v4, v55, v67, v4
	;;#ASMEND
	;;#ASMSTART
	v_dot2_f32_f16 v4, v56, v68, v4
	;;#ASMEND
	;;#ASMSTART
	v_dot2_f32_f16 v4, v57, v69, v4
	;;#ASMEND
	;;#ASMSTART
	v_dot2_f32_f16 v4, v58, v70, v4
	;;#ASMEND
	s_waitcnt lgkmcnt(1)
	;;#ASMSTART
	v_dot2_f32_f16 v26, v55, v71, v26
	;;#ASMEND
	;;#ASMSTART
	v_dot2_f32_f16 v26, v56, v72, v26
	;;#ASMEND
	;;#ASMSTART
	v_dot2_f32_f16 v26, v57, v73, v26
	;;#ASMEND
	;;#ASMSTART
	v_dot2_f32_f16 v26, v58, v74, v26
	;;#ASMEND
	s_waitcnt lgkmcnt(0)
	;;#ASMSTART
	v_dot2_f32_f16 v9, v75, v59, v9
	;;#ASMEND
	;;#ASMSTART
	v_dot2_f32_f16 v9, v76, v60, v9
	;;#ASMEND
	;;#ASMSTART
	v_dot2_f32_f16 v9, v77, v61, v9
	;;#ASMEND
	;;#ASMSTART
	v_dot2_f32_f16 v9, v78, v62, v9
	;;#ASMEND
	;;#ASMSTART
	v_dot2_f32_f16 v7, v75, v63, v7
	;;#ASMEND
	;;#ASMSTART
	v_dot2_f32_f16 v7, v76, v64, v7
	;;#ASMEND
	;; [unrolled: 3-line block ×12, first 2 shown]
	ds_load_b128 v[55:58], v33 offset:12352
	ds_load_b128 v[59:62], v34 offset:192
	;; [unrolled: 1-line block ×6, first 2 shown]
	s_waitcnt lgkmcnt(4)
	;;#ASMSTART
	v_dot2_f32_f16 v8, v55, v59, v8
	;;#ASMEND
	;;#ASMSTART
	v_dot2_f32_f16 v8, v56, v60, v8
	;;#ASMEND
	;;#ASMSTART
	v_dot2_f32_f16 v8, v57, v61, v8
	;;#ASMEND
	;;#ASMSTART
	v_dot2_f32_f16 v8, v58, v62, v8
	;;#ASMEND
	s_waitcnt lgkmcnt(3)
	;;#ASMSTART
	v_dot2_f32_f16 v6, v55, v63, v6
	;;#ASMEND
	;;#ASMSTART
	v_dot2_f32_f16 v6, v56, v64, v6
	;;#ASMEND
	;;#ASMSTART
	v_dot2_f32_f16 v6, v57, v65, v6
	;;#ASMEND
	;;#ASMSTART
	v_dot2_f32_f16 v6, v58, v66, v6
	;;#ASMEND
	;; [unrolled: 13-line block ×5, first 2 shown]
	;;#ASMSTART
	v_dot2_f32_f16 v7, v75, v63, v7
	;;#ASMEND
	;;#ASMSTART
	v_dot2_f32_f16 v7, v76, v64, v7
	;;#ASMEND
	;; [unrolled: 3-line block ×12, first 2 shown]
	ds_load_b128 v[55:58], v33 offset:12368
	ds_load_b128 v[59:62], v34 offset:208
	;; [unrolled: 1-line block ×6, first 2 shown]
	s_waitcnt lgkmcnt(4)
	;;#ASMSTART
	v_dot2_f32_f16 v8, v55, v59, v8
	;;#ASMEND
	;;#ASMSTART
	v_dot2_f32_f16 v8, v56, v60, v8
	;;#ASMEND
	;;#ASMSTART
	v_dot2_f32_f16 v8, v57, v61, v8
	;;#ASMEND
	;;#ASMSTART
	v_dot2_f32_f16 v8, v58, v62, v8
	;;#ASMEND
	s_waitcnt lgkmcnt(3)
	;;#ASMSTART
	v_dot2_f32_f16 v6, v55, v63, v6
	;;#ASMEND
	;;#ASMSTART
	v_dot2_f32_f16 v6, v56, v64, v6
	;;#ASMEND
	;;#ASMSTART
	v_dot2_f32_f16 v6, v57, v65, v6
	;;#ASMEND
	;;#ASMSTART
	v_dot2_f32_f16 v6, v58, v66, v6
	;;#ASMEND
	;; [unrolled: 13-line block ×5, first 2 shown]
	;;#ASMSTART
	v_dot2_f32_f16 v7, v75, v63, v7
	;;#ASMEND
	;;#ASMSTART
	v_dot2_f32_f16 v7, v76, v64, v7
	;;#ASMEND
	;;#ASMSTART
	v_dot2_f32_f16 v7, v77, v65, v7
	;;#ASMEND
	;;#ASMSTART
	v_dot2_f32_f16 v7, v78, v66, v7
	;;#ASMEND
	;;#ASMSTART
	v_dot2_f32_f16 v5, v75, v67, v5
	;;#ASMEND
	;;#ASMSTART
	v_dot2_f32_f16 v5, v76, v68, v5
	;;#ASMEND
	;;#ASMSTART
	v_dot2_f32_f16 v5, v77, v69, v5
	;;#ASMEND
	;;#ASMSTART
	v_dot2_f32_f16 v5, v78, v70, v5
	;;#ASMEND
	;;#ASMSTART
	v_dot2_f32_f16 v54, v75, v71, v54
	;;#ASMEND
	;;#ASMSTART
	v_dot2_f32_f16 v54, v76, v72, v54
	;;#ASMEND
	;;#ASMSTART
	v_dot2_f32_f16 v54, v77, v73, v54
	;;#ASMEND
	;;#ASMSTART
	v_dot2_f32_f16 v54, v78, v74, v54
	;;#ASMEND
	ds_load_b128 v[55:58], v33 offset:12384
	ds_load_b128 v[59:62], v34 offset:224
	;; [unrolled: 1-line block ×6, first 2 shown]
	s_waitcnt lgkmcnt(4)
	;;#ASMSTART
	v_dot2_f32_f16 v8, v55, v59, v8
	;;#ASMEND
	;;#ASMSTART
	v_dot2_f32_f16 v8, v56, v60, v8
	;;#ASMEND
	;;#ASMSTART
	v_dot2_f32_f16 v8, v57, v61, v8
	;;#ASMEND
	;;#ASMSTART
	v_dot2_f32_f16 v8, v58, v62, v8
	;;#ASMEND
	s_waitcnt lgkmcnt(3)
	;;#ASMSTART
	v_dot2_f32_f16 v6, v55, v63, v6
	;;#ASMEND
	;;#ASMSTART
	v_dot2_f32_f16 v6, v56, v64, v6
	;;#ASMEND
	;;#ASMSTART
	v_dot2_f32_f16 v6, v57, v65, v6
	;;#ASMEND
	;;#ASMSTART
	v_dot2_f32_f16 v6, v58, v66, v6
	;;#ASMEND
	;; [unrolled: 13-line block ×5, first 2 shown]
	;;#ASMSTART
	v_dot2_f32_f16 v7, v75, v63, v7
	;;#ASMEND
	;;#ASMSTART
	v_dot2_f32_f16 v7, v76, v64, v7
	;;#ASMEND
	;; [unrolled: 3-line block ×12, first 2 shown]
	ds_load_b128 v[55:58], v33 offset:12400
	ds_load_b128 v[59:62], v34 offset:240
	;; [unrolled: 1-line block ×6, first 2 shown]
	s_waitcnt lgkmcnt(4)
	;;#ASMSTART
	v_dot2_f32_f16 v8, v55, v59, v8
	;;#ASMEND
	;;#ASMSTART
	v_dot2_f32_f16 v8, v56, v60, v8
	;;#ASMEND
	;;#ASMSTART
	v_dot2_f32_f16 v8, v57, v61, v8
	;;#ASMEND
	;;#ASMSTART
	v_dot2_f32_f16 v8, v58, v62, v8
	;;#ASMEND
	s_waitcnt lgkmcnt(3)
	;;#ASMSTART
	v_dot2_f32_f16 v6, v55, v63, v6
	;;#ASMEND
	;;#ASMSTART
	v_dot2_f32_f16 v6, v56, v64, v6
	;;#ASMEND
	;;#ASMSTART
	v_dot2_f32_f16 v6, v57, v65, v6
	;;#ASMEND
	;;#ASMSTART
	v_dot2_f32_f16 v6, v58, v66, v6
	;;#ASMEND
	;; [unrolled: 13-line block ×5, first 2 shown]
	;;#ASMSTART
	v_dot2_f32_f16 v7, v75, v63, v7
	;;#ASMEND
	;;#ASMSTART
	v_dot2_f32_f16 v7, v76, v64, v7
	;;#ASMEND
	;; [unrolled: 3-line block ×12, first 2 shown]
	s_barrier
	buffer_gl0_inv
	s_clause 0x1
	global_load_b128 v[55:58], v[0:1], off offset:256
	global_load_b128 v[0:3], v[2:3], off offset:256
	s_waitcnt vmcnt(1)
	ds_store_b128 v31, v[55:58]
	s_waitcnt vmcnt(0)
	ds_store_b128 v32, v[0:3]
	s_waitcnt lgkmcnt(0)
	s_barrier
	buffer_gl0_inv
	ds_load_b128 v[0:3], v33 offset:12288
	ds_load_b128 v[55:58], v34 offset:256
	;; [unrolled: 1-line block ×6, first 2 shown]
	s_waitcnt lgkmcnt(4)
	;;#ASMSTART
	v_dot2_f32_f16 v8, v0, v55, v8
	;;#ASMEND
	;;#ASMSTART
	v_dot2_f32_f16 v8, v1, v56, v8
	;;#ASMEND
	;;#ASMSTART
	v_dot2_f32_f16 v8, v2, v57, v8
	;;#ASMEND
	;;#ASMSTART
	v_dot2_f32_f16 v8, v3, v58, v8
	;;#ASMEND
	s_waitcnt lgkmcnt(3)
	;;#ASMSTART
	v_dot2_f32_f16 v6, v0, v59, v6
	;;#ASMEND
	;;#ASMSTART
	v_dot2_f32_f16 v6, v1, v60, v6
	;;#ASMEND
	;;#ASMSTART
	v_dot2_f32_f16 v6, v2, v61, v6
	;;#ASMEND
	;;#ASMSTART
	v_dot2_f32_f16 v6, v3, v62, v6
	;;#ASMEND
	;; [unrolled: 13-line block ×5, first 2 shown]
	;;#ASMSTART
	v_dot2_f32_f16 v7, v71, v59, v7
	;;#ASMEND
	;;#ASMSTART
	v_dot2_f32_f16 v7, v72, v60, v7
	;;#ASMEND
	;; [unrolled: 3-line block ×12, first 2 shown]
	ds_load_b128 v[0:3], v33 offset:12304
	ds_load_b128 v[55:58], v34 offset:272
	;; [unrolled: 1-line block ×6, first 2 shown]
	s_waitcnt lgkmcnt(4)
	;;#ASMSTART
	v_dot2_f32_f16 v8, v0, v55, v8
	;;#ASMEND
	;;#ASMSTART
	v_dot2_f32_f16 v8, v1, v56, v8
	;;#ASMEND
	;;#ASMSTART
	v_dot2_f32_f16 v8, v2, v57, v8
	;;#ASMEND
	;;#ASMSTART
	v_dot2_f32_f16 v8, v3, v58, v8
	;;#ASMEND
	s_waitcnt lgkmcnt(3)
	;;#ASMSTART
	v_dot2_f32_f16 v6, v0, v59, v6
	;;#ASMEND
	;;#ASMSTART
	v_dot2_f32_f16 v6, v1, v60, v6
	;;#ASMEND
	;;#ASMSTART
	v_dot2_f32_f16 v6, v2, v61, v6
	;;#ASMEND
	;;#ASMSTART
	v_dot2_f32_f16 v6, v3, v62, v6
	;;#ASMEND
	;; [unrolled: 13-line block ×5, first 2 shown]
	;;#ASMSTART
	v_dot2_f32_f16 v7, v71, v59, v7
	;;#ASMEND
	;;#ASMSTART
	v_dot2_f32_f16 v7, v72, v60, v7
	;;#ASMEND
	;; [unrolled: 3-line block ×12, first 2 shown]
	ds_load_b128 v[0:3], v33 offset:12320
	ds_load_b128 v[55:58], v34 offset:288
	ds_load_b128 v[59:62], v34 offset:672
	ds_load_b128 v[63:66], v34 offset:1056
	ds_load_b128 v[67:70], v34 offset:1440
	ds_load_b128 v[71:74], v33 offset:16928
	s_waitcnt lgkmcnt(4)
	;;#ASMSTART
	v_dot2_f32_f16 v8, v0, v55, v8
	;;#ASMEND
	;;#ASMSTART
	v_dot2_f32_f16 v8, v1, v56, v8
	;;#ASMEND
	;;#ASMSTART
	v_dot2_f32_f16 v8, v2, v57, v8
	;;#ASMEND
	;;#ASMSTART
	v_dot2_f32_f16 v8, v3, v58, v8
	;;#ASMEND
	s_waitcnt lgkmcnt(3)
	;;#ASMSTART
	v_dot2_f32_f16 v6, v0, v59, v6
	;;#ASMEND
	;;#ASMSTART
	v_dot2_f32_f16 v6, v1, v60, v6
	;;#ASMEND
	;;#ASMSTART
	v_dot2_f32_f16 v6, v2, v61, v6
	;;#ASMEND
	;;#ASMSTART
	v_dot2_f32_f16 v6, v3, v62, v6
	;;#ASMEND
	;; [unrolled: 13-line block ×5, first 2 shown]
	;;#ASMSTART
	v_dot2_f32_f16 v7, v71, v59, v7
	;;#ASMEND
	;;#ASMSTART
	v_dot2_f32_f16 v7, v72, v60, v7
	;;#ASMEND
	;; [unrolled: 3-line block ×12, first 2 shown]
	ds_load_b128 v[0:3], v33 offset:12336
	ds_load_b128 v[55:58], v34 offset:304
	;; [unrolled: 1-line block ×6, first 2 shown]
	s_waitcnt lgkmcnt(4)
	;;#ASMSTART
	v_dot2_f32_f16 v8, v0, v55, v8
	;;#ASMEND
	;;#ASMSTART
	v_dot2_f32_f16 v8, v1, v56, v8
	;;#ASMEND
	;;#ASMSTART
	v_dot2_f32_f16 v8, v2, v57, v8
	;;#ASMEND
	;;#ASMSTART
	v_dot2_f32_f16 v8, v3, v58, v8
	;;#ASMEND
	s_waitcnt lgkmcnt(3)
	;;#ASMSTART
	v_dot2_f32_f16 v6, v0, v59, v6
	;;#ASMEND
	;;#ASMSTART
	v_dot2_f32_f16 v6, v1, v60, v6
	;;#ASMEND
	;;#ASMSTART
	v_dot2_f32_f16 v6, v2, v61, v6
	;;#ASMEND
	;;#ASMSTART
	v_dot2_f32_f16 v6, v3, v62, v6
	;;#ASMEND
	;; [unrolled: 13-line block ×5, first 2 shown]
	;;#ASMSTART
	v_dot2_f32_f16 v7, v71, v59, v7
	;;#ASMEND
	;;#ASMSTART
	v_dot2_f32_f16 v7, v72, v60, v7
	;;#ASMEND
	;; [unrolled: 3-line block ×12, first 2 shown]
	ds_load_b128 v[0:3], v33 offset:12352
	ds_load_b128 v[55:58], v34 offset:320
	;; [unrolled: 1-line block ×6, first 2 shown]
	s_waitcnt lgkmcnt(4)
	;;#ASMSTART
	v_dot2_f32_f16 v8, v0, v55, v8
	;;#ASMEND
	;;#ASMSTART
	v_dot2_f32_f16 v8, v1, v56, v8
	;;#ASMEND
	;;#ASMSTART
	v_dot2_f32_f16 v8, v2, v57, v8
	;;#ASMEND
	;;#ASMSTART
	v_dot2_f32_f16 v8, v3, v58, v8
	;;#ASMEND
	s_waitcnt lgkmcnt(3)
	;;#ASMSTART
	v_dot2_f32_f16 v6, v0, v59, v6
	;;#ASMEND
	;;#ASMSTART
	v_dot2_f32_f16 v6, v1, v60, v6
	;;#ASMEND
	;;#ASMSTART
	v_dot2_f32_f16 v6, v2, v61, v6
	;;#ASMEND
	;;#ASMSTART
	v_dot2_f32_f16 v6, v3, v62, v6
	;;#ASMEND
	;; [unrolled: 13-line block ×5, first 2 shown]
	;;#ASMSTART
	v_dot2_f32_f16 v7, v71, v59, v7
	;;#ASMEND
	;;#ASMSTART
	v_dot2_f32_f16 v7, v72, v60, v7
	;;#ASMEND
	;; [unrolled: 3-line block ×12, first 2 shown]
	ds_load_b128 v[0:3], v33 offset:12368
	ds_load_b128 v[55:58], v34 offset:336
	;; [unrolled: 1-line block ×6, first 2 shown]
	s_waitcnt lgkmcnt(4)
	;;#ASMSTART
	v_dot2_f32_f16 v8, v0, v55, v8
	;;#ASMEND
	;;#ASMSTART
	v_dot2_f32_f16 v8, v1, v56, v8
	;;#ASMEND
	;;#ASMSTART
	v_dot2_f32_f16 v8, v2, v57, v8
	;;#ASMEND
	;;#ASMSTART
	v_dot2_f32_f16 v8, v3, v58, v8
	;;#ASMEND
	s_waitcnt lgkmcnt(3)
	;;#ASMSTART
	v_dot2_f32_f16 v6, v0, v59, v6
	;;#ASMEND
	;;#ASMSTART
	v_dot2_f32_f16 v6, v1, v60, v6
	;;#ASMEND
	;;#ASMSTART
	v_dot2_f32_f16 v6, v2, v61, v6
	;;#ASMEND
	;;#ASMSTART
	v_dot2_f32_f16 v6, v3, v62, v6
	;;#ASMEND
	;; [unrolled: 13-line block ×5, first 2 shown]
	;;#ASMSTART
	v_dot2_f32_f16 v7, v71, v59, v7
	;;#ASMEND
	;;#ASMSTART
	v_dot2_f32_f16 v7, v72, v60, v7
	;;#ASMEND
	;; [unrolled: 3-line block ×12, first 2 shown]
	ds_load_b128 v[0:3], v33 offset:12384
	ds_load_b128 v[55:58], v34 offset:352
	;; [unrolled: 1-line block ×6, first 2 shown]
	s_waitcnt lgkmcnt(4)
	;;#ASMSTART
	v_dot2_f32_f16 v8, v0, v55, v8
	;;#ASMEND
	;;#ASMSTART
	v_dot2_f32_f16 v8, v1, v56, v8
	;;#ASMEND
	;;#ASMSTART
	v_dot2_f32_f16 v8, v2, v57, v8
	;;#ASMEND
	;;#ASMSTART
	v_dot2_f32_f16 v8, v3, v58, v8
	;;#ASMEND
	s_waitcnt lgkmcnt(3)
	;;#ASMSTART
	v_dot2_f32_f16 v6, v0, v59, v6
	;;#ASMEND
	;;#ASMSTART
	v_dot2_f32_f16 v6, v1, v60, v6
	;;#ASMEND
	;;#ASMSTART
	v_dot2_f32_f16 v6, v2, v61, v6
	;;#ASMEND
	;;#ASMSTART
	v_dot2_f32_f16 v6, v3, v62, v6
	;;#ASMEND
	;; [unrolled: 13-line block ×5, first 2 shown]
	;;#ASMSTART
	v_dot2_f32_f16 v7, v71, v59, v7
	;;#ASMEND
	;;#ASMSTART
	v_dot2_f32_f16 v7, v72, v60, v7
	;;#ASMEND
	;;#ASMSTART
	v_dot2_f32_f16 v7, v73, v61, v7
	;;#ASMEND
	;;#ASMSTART
	v_dot2_f32_f16 v7, v74, v62, v7
	;;#ASMEND
	;;#ASMSTART
	v_dot2_f32_f16 v5, v71, v63, v5
	;;#ASMEND
	;;#ASMSTART
	v_dot2_f32_f16 v5, v72, v64, v5
	;;#ASMEND
	;;#ASMSTART
	v_dot2_f32_f16 v5, v73, v65, v5
	;;#ASMEND
	;;#ASMSTART
	v_dot2_f32_f16 v5, v74, v66, v5
	;;#ASMEND
	;;#ASMSTART
	v_dot2_f32_f16 v54, v71, v67, v54
	;;#ASMEND
	;;#ASMSTART
	v_dot2_f32_f16 v54, v72, v68, v54
	;;#ASMEND
	;;#ASMSTART
	v_dot2_f32_f16 v54, v73, v69, v54
	;;#ASMEND
	;;#ASMSTART
	v_dot2_f32_f16 v54, v74, v70, v54
	;;#ASMEND
	ds_load_b128 v[0:3], v33 offset:12400
	ds_load_b128 v[55:58], v34 offset:368
	;; [unrolled: 1-line block ×6, first 2 shown]
	s_waitcnt lgkmcnt(4)
	;;#ASMSTART
	v_dot2_f32_f16 v8, v0, v55, v8
	;;#ASMEND
	;;#ASMSTART
	v_dot2_f32_f16 v8, v1, v56, v8
	;;#ASMEND
	;;#ASMSTART
	v_dot2_f32_f16 v8, v2, v57, v8
	;;#ASMEND
	;;#ASMSTART
	v_dot2_f32_f16 v8, v3, v58, v8
	;;#ASMEND
	s_waitcnt lgkmcnt(3)
	;;#ASMSTART
	v_dot2_f32_f16 v6, v0, v59, v6
	;;#ASMEND
	;;#ASMSTART
	v_dot2_f32_f16 v6, v1, v60, v6
	;;#ASMEND
	;;#ASMSTART
	v_dot2_f32_f16 v6, v2, v61, v6
	;;#ASMEND
	;;#ASMSTART
	v_dot2_f32_f16 v6, v3, v62, v6
	;;#ASMEND
	;; [unrolled: 13-line block ×5, first 2 shown]
	;;#ASMSTART
	v_dot2_f32_f16 v7, v71, v59, v7
	;;#ASMEND
	;;#ASMSTART
	v_dot2_f32_f16 v7, v72, v60, v7
	;;#ASMEND
	;; [unrolled: 3-line block ×5, first 2 shown]
	v_cmp_ngt_f32_e64 s18, 0x3f200000, |v8|
	;;#ASMSTART
	v_dot2_f32_f16 v5, v72, v64, v5
	;;#ASMEND
	;;#ASMSTART
	v_dot2_f32_f16 v5, v73, v65, v5
	;;#ASMEND
	;; [unrolled: 3-line block ×7, first 2 shown]
                                        ; implicit-def: $vgpr3
	s_and_saveexec_b32 s19, s18
	s_delay_alu instid0(SALU_CYCLE_1)
	s_xor_b32 s18, exec_lo, s19
	s_cbranch_execz .LBB21_19
; %bb.18:                               ;   in Loop: Header=BB21_17 Depth=1
	v_add_f32_e64 v0, |v8|, |v8|
	s_delay_alu instid0(VALU_DEP_1) | instskip(SKIP_1) | instid1(VALU_DEP_2)
	v_mul_f32_e32 v1, 0x3fb8aa3b, v0
	v_cmp_ngt_f32_e32 vcc_lo, 0xc2ce8ed0, v0
	v_rndne_f32_e32 v2, v1
	v_fma_f32 v3, 0x3fb8aa3b, v0, -v1
	s_delay_alu instid0(VALU_DEP_2) | instskip(NEXT) | instid1(VALU_DEP_2)
	v_sub_f32_e32 v1, v1, v2
	v_fmac_f32_e32 v3, 0x32a5705f, v0
	v_cvt_i32_f32_e32 v2, v2
	s_delay_alu instid0(VALU_DEP_2) | instskip(NEXT) | instid1(VALU_DEP_1)
	v_add_f32_e32 v1, v1, v3
	v_exp_f32_e32 v1, v1
	s_waitcnt_depctr 0xfff
	v_ldexp_f32 v1, v1, v2
	s_delay_alu instid0(VALU_DEP_1) | instskip(SKIP_1) | instid1(VALU_DEP_2)
	v_cndmask_b32_e32 v1, 0, v1, vcc_lo
	v_cmp_nlt_f32_e32 vcc_lo, 0x42b17218, v0
	v_cndmask_b32_e32 v0, 0x7f800000, v1, vcc_lo
	s_delay_alu instid0(VALU_DEP_1) | instskip(NEXT) | instid1(VALU_DEP_1)
	v_add_f32_e32 v0, 1.0, v0
	v_rcp_f32_e32 v0, v0
	s_waitcnt_depctr 0xfff
	v_fma_f32 v3, v0, -2.0, 1.0
.LBB21_19:                              ;   in Loop: Header=BB21_17 Depth=1
	s_and_not1_saveexec_b32 s18, s18
; %bb.20:                               ;   in Loop: Header=BB21_17 Depth=1
	v_mul_f32_e32 v0, v8, v8
	s_delay_alu instid0(VALU_DEP_1) | instskip(NEXT) | instid1(VALU_DEP_1)
	v_fmaak_f32 v1, s17, v0, 0x3ca908c9
	v_fmaak_f32 v1, v0, v1, 0xbd5c1c4e
	s_delay_alu instid0(VALU_DEP_1) | instskip(NEXT) | instid1(VALU_DEP_1)
	v_fmaak_f32 v1, v0, v1, 0x3e088382
	v_fmaak_f32 v1, v0, v1, 0xbeaaaa99
	s_delay_alu instid0(VALU_DEP_1) | instskip(NEXT) | instid1(VALU_DEP_1)
	v_mul_f32_e64 v1, |v8|, v1
	v_fma_f32 v3, v0, v1, |v8|
; %bb.21:                               ;   in Loop: Header=BB21_17 Depth=1
	s_or_b32 exec_lo, exec_lo, s18
	v_add_nc_u32_e32 v0, s4, v14
	v_cmp_ngt_f32_e64 s18, 0x3f200000, |v9|
                                        ; implicit-def: $vgpr11
	s_delay_alu instid0(VALU_DEP_2) | instskip(NEXT) | instid1(VALU_DEP_1)
	v_ashrrev_i32_e32 v1, 31, v0
	v_lshlrev_b64 v[0:1], 1, v[0:1]
	s_delay_alu instid0(VALU_DEP_1) | instskip(NEXT) | instid1(VALU_DEP_2)
	v_add_co_u32 v0, vcc_lo, s36, v0
	v_add_co_ci_u32_e32 v1, vcc_lo, s37, v1, vcc_lo
	flat_load_u16 v2, v[0:1]
	s_and_saveexec_b32 s19, s18
	s_delay_alu instid0(SALU_CYCLE_1)
	s_xor_b32 s18, exec_lo, s19
	s_cbranch_execz .LBB21_23
; %bb.22:                               ;   in Loop: Header=BB21_17 Depth=1
	v_add_f32_e64 v10, |v9|, |v9|
	s_delay_alu instid0(VALU_DEP_1) | instskip(SKIP_1) | instid1(VALU_DEP_2)
	v_mul_f32_e32 v11, 0x3fb8aa3b, v10
	v_cmp_ngt_f32_e32 vcc_lo, 0xc2ce8ed0, v10
	v_rndne_f32_e32 v55, v11
	v_fma_f32 v56, 0x3fb8aa3b, v10, -v11
	s_delay_alu instid0(VALU_DEP_1) | instskip(SKIP_1) | instid1(VALU_DEP_2)
	v_dual_sub_f32 v11, v11, v55 :: v_dual_fmac_f32 v56, 0x32a5705f, v10
	v_cvt_i32_f32_e32 v55, v55
	v_add_f32_e32 v11, v11, v56
	s_delay_alu instid0(VALU_DEP_1) | instskip(SKIP_2) | instid1(VALU_DEP_1)
	v_exp_f32_e32 v11, v11
	s_waitcnt_depctr 0xfff
	v_ldexp_f32 v11, v11, v55
	v_cndmask_b32_e32 v11, 0, v11, vcc_lo
	v_cmp_nlt_f32_e32 vcc_lo, 0x42b17218, v10
	s_delay_alu instid0(VALU_DEP_2) | instskip(NEXT) | instid1(VALU_DEP_1)
	v_cndmask_b32_e32 v10, 0x7f800000, v11, vcc_lo
	v_add_f32_e32 v10, 1.0, v10
	s_delay_alu instid0(VALU_DEP_1)
	v_rcp_f32_e32 v10, v10
	s_waitcnt_depctr 0xfff
	v_fma_f32 v11, v10, -2.0, 1.0
.LBB21_23:                              ;   in Loop: Header=BB21_17 Depth=1
	s_and_not1_saveexec_b32 s18, s18
; %bb.24:                               ;   in Loop: Header=BB21_17 Depth=1
	v_mul_f32_e32 v10, v9, v9
	s_delay_alu instid0(VALU_DEP_1) | instskip(NEXT) | instid1(VALU_DEP_1)
	v_fmaak_f32 v11, s17, v10, 0x3ca908c9
	v_fmaak_f32 v11, v10, v11, 0xbd5c1c4e
	s_delay_alu instid0(VALU_DEP_1) | instskip(NEXT) | instid1(VALU_DEP_1)
	v_fmaak_f32 v11, v10, v11, 0x3e088382
	v_fmaak_f32 v11, v10, v11, 0xbeaaaa99
	s_delay_alu instid0(VALU_DEP_1) | instskip(NEXT) | instid1(VALU_DEP_1)
	v_mul_f32_e64 v11, |v9|, v11
	v_fma_f32 v11, v10, v11, |v9|
; %bb.25:                               ;   in Loop: Header=BB21_17 Depth=1
	s_or_b32 exec_lo, exec_lo, s18
	flat_load_u16 v10, v[0:1] offset:64
	v_bfi_b32 v0, 0x7fffffff, v3, v8
	v_bfi_b32 v1, 0x7fffffff, v11, v9
	v_xor_b32_e32 v59, 16, v29
	v_xor_b32_e32 v58, 8, v29
	;; [unrolled: 1-line block ×3, first 2 shown]
	s_waitcnt vmcnt(1) lgkmcnt(1)
	v_fma_mix_f32 v69, v0, s8, v2 op_sel_hi:[0,0,1]
	v_xor_b32_e32 v56, 2, v29
	v_cmp_gt_i32_e32 vcc_lo, 32, v59
	v_xor_b32_e32 v55, 1, v29
	v_cmp_ngt_f32_e64 s18, 0x3f200000, |v6|
	v_add_f32_e32 v0, 0x40051340, v69
                                        ; implicit-def: $vgpr8
	s_waitcnt vmcnt(0) lgkmcnt(0)
	v_fma_mix_f32 v70, v1, s8, v10 op_sel_hi:[0,0,1]
	v_cndmask_b32_e32 v1, v29, v59, vcc_lo
	v_cmp_gt_i32_e32 vcc_lo, 32, v58
	s_delay_alu instid0(VALU_DEP_2) | instskip(NEXT) | instid1(VALU_DEP_1)
	v_dual_add_f32 v3, 0x40051340, v70 :: v_dual_lshlrev_b32 v68, 2, v1
	v_max3_f32 v0, v24, v0, v3
	ds_bpermute_b32 v1, v68, v0
	s_waitcnt lgkmcnt(0)
	v_max_f32_e32 v1, v1, v1
	v_cndmask_b32_e32 v3, v29, v58, vcc_lo
	v_cmp_gt_i32_e32 vcc_lo, 32, v57
	s_delay_alu instid0(VALU_DEP_2)
	v_dual_max_f32 v0, v0, v1 :: v_dual_lshlrev_b32 v67, 2, v3
	v_cndmask_b32_e32 v3, v29, v57, vcc_lo
	v_cmp_gt_i32_e32 vcc_lo, 32, v56
	ds_bpermute_b32 v1, v67, v0
	s_waitcnt lgkmcnt(0)
	v_dual_max_f32 v1, v1, v1 :: v_dual_lshlrev_b32 v66, 2, v3
	s_delay_alu instid0(VALU_DEP_1)
	v_max_f32_e32 v0, v0, v1
	ds_bpermute_b32 v1, v66, v0
	s_waitcnt lgkmcnt(0)
	v_max_f32_e32 v1, v1, v1
	v_cndmask_b32_e32 v3, v29, v56, vcc_lo
	v_cmp_gt_i32_e32 vcc_lo, 32, v55
	s_delay_alu instid0(VALU_DEP_2)
	v_dual_max_f32 v0, v0, v1 :: v_dual_lshlrev_b32 v63, 2, v3
	v_cndmask_b32_e32 v3, v29, v55, vcc_lo
	ds_bpermute_b32 v1, v63, v0
	v_lshlrev_b32_e32 v3, 2, v3
	s_waitcnt lgkmcnt(0)
	v_max_f32_e32 v1, v1, v1
	s_delay_alu instid0(VALU_DEP_1) | instskip(SKIP_2) | instid1(SALU_CYCLE_1)
	v_max_f32_e32 v0, v0, v1
	ds_bpermute_b32 v1, v3, v0
	s_and_saveexec_b32 s19, s18
	s_xor_b32 s18, exec_lo, s19
	s_cbranch_execz .LBB21_27
; %bb.26:                               ;   in Loop: Header=BB21_17 Depth=1
	v_add_f32_e64 v8, |v6|, |v6|
	s_delay_alu instid0(VALU_DEP_1) | instskip(SKIP_1) | instid1(VALU_DEP_2)
	v_mul_f32_e32 v9, 0x3fb8aa3b, v8
	v_cmp_ngt_f32_e32 vcc_lo, 0xc2ce8ed0, v8
	v_rndne_f32_e32 v11, v9
	v_fma_f32 v60, 0x3fb8aa3b, v8, -v9
	s_delay_alu instid0(VALU_DEP_1) | instskip(SKIP_1) | instid1(VALU_DEP_2)
	v_dual_sub_f32 v9, v9, v11 :: v_dual_fmac_f32 v60, 0x32a5705f, v8
	v_cvt_i32_f32_e32 v11, v11
	v_add_f32_e32 v9, v9, v60
	s_delay_alu instid0(VALU_DEP_1) | instskip(SKIP_2) | instid1(VALU_DEP_1)
	v_exp_f32_e32 v9, v9
	s_waitcnt_depctr 0xfff
	v_ldexp_f32 v9, v9, v11
	v_cndmask_b32_e32 v9, 0, v9, vcc_lo
	v_cmp_nlt_f32_e32 vcc_lo, 0x42b17218, v8
	s_delay_alu instid0(VALU_DEP_2) | instskip(NEXT) | instid1(VALU_DEP_1)
	v_cndmask_b32_e32 v8, 0x7f800000, v9, vcc_lo
	v_add_f32_e32 v8, 1.0, v8
	s_delay_alu instid0(VALU_DEP_1)
	v_rcp_f32_e32 v8, v8
	s_waitcnt_depctr 0xfff
	v_fma_f32 v8, v8, -2.0, 1.0
.LBB21_27:                              ;   in Loop: Header=BB21_17 Depth=1
	s_and_not1_saveexec_b32 s18, s18
; %bb.28:                               ;   in Loop: Header=BB21_17 Depth=1
	v_mul_f32_e32 v8, v6, v6
	s_delay_alu instid0(VALU_DEP_1) | instskip(NEXT) | instid1(VALU_DEP_1)
	v_fmaak_f32 v9, s17, v8, 0x3ca908c9
	v_fmaak_f32 v9, v8, v9, 0xbd5c1c4e
	s_delay_alu instid0(VALU_DEP_1) | instskip(NEXT) | instid1(VALU_DEP_1)
	v_fmaak_f32 v9, v8, v9, 0x3e088382
	v_fmaak_f32 v9, v8, v9, 0xbeaaaa99
	s_delay_alu instid0(VALU_DEP_1) | instskip(NEXT) | instid1(VALU_DEP_1)
	v_mul_f32_e64 v9, |v6|, v9
	v_fma_f32 v8, v8, v9, |v6|
; %bb.29:                               ;   in Loop: Header=BB21_17 Depth=1
	s_or_b32 exec_lo, exec_lo, s18
	v_cmp_ngt_f32_e64 s18, 0x3f200000, |v7|
                                        ; implicit-def: $vgpr9
	s_delay_alu instid0(VALU_DEP_1) | instskip(NEXT) | instid1(SALU_CYCLE_1)
	s_and_saveexec_b32 s19, s18
	s_xor_b32 s18, exec_lo, s19
	s_cbranch_execz .LBB21_31
; %bb.30:                               ;   in Loop: Header=BB21_17 Depth=1
	v_add_f32_e64 v9, |v7|, |v7|
	s_delay_alu instid0(VALU_DEP_1) | instskip(SKIP_1) | instid1(VALU_DEP_2)
	v_mul_f32_e32 v11, 0x3fb8aa3b, v9
	v_cmp_ngt_f32_e32 vcc_lo, 0xc2ce8ed0, v9
	v_rndne_f32_e32 v60, v11
	v_fma_f32 v61, 0x3fb8aa3b, v9, -v11
	s_delay_alu instid0(VALU_DEP_2) | instskip(NEXT) | instid1(VALU_DEP_2)
	v_sub_f32_e32 v11, v11, v60
	v_fmac_f32_e32 v61, 0x32a5705f, v9
	v_cvt_i32_f32_e32 v60, v60
	s_delay_alu instid0(VALU_DEP_2) | instskip(NEXT) | instid1(VALU_DEP_1)
	v_add_f32_e32 v11, v11, v61
	v_exp_f32_e32 v11, v11
	s_waitcnt_depctr 0xfff
	v_ldexp_f32 v11, v11, v60
	s_delay_alu instid0(VALU_DEP_1) | instskip(SKIP_1) | instid1(VALU_DEP_2)
	v_cndmask_b32_e32 v11, 0, v11, vcc_lo
	v_cmp_nlt_f32_e32 vcc_lo, 0x42b17218, v9
	v_cndmask_b32_e32 v9, 0x7f800000, v11, vcc_lo
	s_delay_alu instid0(VALU_DEP_1) | instskip(NEXT) | instid1(VALU_DEP_1)
	v_add_f32_e32 v9, 1.0, v9
	v_rcp_f32_e32 v9, v9
	s_waitcnt_depctr 0xfff
	v_fma_f32 v9, v9, -2.0, 1.0
.LBB21_31:                              ;   in Loop: Header=BB21_17 Depth=1
	s_and_not1_saveexec_b32 s18, s18
; %bb.32:                               ;   in Loop: Header=BB21_17 Depth=1
	v_mul_f32_e32 v9, v7, v7
	s_delay_alu instid0(VALU_DEP_1) | instskip(NEXT) | instid1(VALU_DEP_1)
	v_fmaak_f32 v11, s17, v9, 0x3ca908c9
	v_fmaak_f32 v11, v9, v11, 0xbd5c1c4e
	s_delay_alu instid0(VALU_DEP_1) | instskip(NEXT) | instid1(VALU_DEP_1)
	v_fmaak_f32 v11, v9, v11, 0x3e088382
	v_fmaak_f32 v11, v9, v11, 0xbeaaaa99
	s_delay_alu instid0(VALU_DEP_1) | instskip(NEXT) | instid1(VALU_DEP_1)
	v_mul_f32_e64 v11, |v7|, v11
	v_fma_f32 v9, v9, v11, |v7|
; %bb.33:                               ;   in Loop: Header=BB21_17 Depth=1
	s_or_b32 exec_lo, exec_lo, s18
	v_cvt_f32_f16_e32 v65, v2
	v_cvt_f32_f16_e32 v64, v10
	v_bfi_b32 v2, 0x7fffffff, v8, v6
	v_bfi_b32 v6, 0x7fffffff, v9, v7
	v_cmp_ngt_f32_e64 s18, 0x3f200000, |v4|
	s_delay_alu instid0(VALU_DEP_3) | instskip(NEXT) | instid1(VALU_DEP_3)
	v_fma_f32 v73, s8, v2, v65
	v_fma_f32 v72, s8, v6, v64
	s_delay_alu instid0(VALU_DEP_2) | instskip(NEXT) | instid1(VALU_DEP_2)
	v_add_f32_e32 v2, 0x40051340, v73
	v_add_f32_e32 v6, 0x40051340, v72
	s_delay_alu instid0(VALU_DEP_1) | instskip(SKIP_3) | instid1(VALU_DEP_1)
	v_max3_f32 v2, v25, v2, v6
	ds_bpermute_b32 v6, v68, v2
	s_waitcnt lgkmcnt(0)
	v_max_f32_e32 v6, v6, v6
	v_max_f32_e32 v2, v2, v6
	ds_bpermute_b32 v6, v67, v2
	s_waitcnt lgkmcnt(0)
	v_max_f32_e32 v6, v6, v6
	s_delay_alu instid0(VALU_DEP_1) | instskip(SKIP_3) | instid1(VALU_DEP_1)
	v_max_f32_e32 v2, v2, v6
	ds_bpermute_b32 v6, v66, v2
	s_waitcnt lgkmcnt(0)
	v_max_f32_e32 v6, v6, v6
	v_max_f32_e32 v2, v2, v6
	ds_bpermute_b32 v6, v63, v2
	s_waitcnt lgkmcnt(0)
	v_max_f32_e32 v6, v6, v6
	s_delay_alu instid0(VALU_DEP_1) | instskip(SKIP_2) | instid1(SALU_CYCLE_1)
	v_max_f32_e32 v2, v2, v6
                                        ; implicit-def: $vgpr6
	ds_bpermute_b32 v60, v3, v2
	s_and_saveexec_b32 s19, s18
	s_xor_b32 s18, exec_lo, s19
	s_cbranch_execz .LBB21_35
; %bb.34:                               ;   in Loop: Header=BB21_17 Depth=1
	v_add_f32_e64 v6, |v4|, |v4|
	s_delay_alu instid0(VALU_DEP_1) | instskip(SKIP_1) | instid1(VALU_DEP_2)
	v_mul_f32_e32 v7, 0x3fb8aa3b, v6
	v_cmp_ngt_f32_e32 vcc_lo, 0xc2ce8ed0, v6
	v_rndne_f32_e32 v8, v7
	v_fma_f32 v9, 0x3fb8aa3b, v6, -v7
	s_delay_alu instid0(VALU_DEP_2) | instskip(NEXT) | instid1(VALU_DEP_2)
	v_sub_f32_e32 v7, v7, v8
	v_fmac_f32_e32 v9, 0x32a5705f, v6
	v_cvt_i32_f32_e32 v8, v8
	s_delay_alu instid0(VALU_DEP_2) | instskip(NEXT) | instid1(VALU_DEP_1)
	v_add_f32_e32 v7, v7, v9
	v_exp_f32_e32 v7, v7
	s_waitcnt_depctr 0xfff
	v_ldexp_f32 v7, v7, v8
	s_delay_alu instid0(VALU_DEP_1) | instskip(SKIP_1) | instid1(VALU_DEP_2)
	v_cndmask_b32_e32 v7, 0, v7, vcc_lo
	v_cmp_nlt_f32_e32 vcc_lo, 0x42b17218, v6
	v_cndmask_b32_e32 v6, 0x7f800000, v7, vcc_lo
	s_delay_alu instid0(VALU_DEP_1) | instskip(NEXT) | instid1(VALU_DEP_1)
	v_add_f32_e32 v6, 1.0, v6
	v_rcp_f32_e32 v6, v6
	s_waitcnt_depctr 0xfff
	v_fma_f32 v6, v6, -2.0, 1.0
.LBB21_35:                              ;   in Loop: Header=BB21_17 Depth=1
	s_and_not1_saveexec_b32 s18, s18
; %bb.36:                               ;   in Loop: Header=BB21_17 Depth=1
	v_mul_f32_e32 v6, v4, v4
	s_delay_alu instid0(VALU_DEP_1) | instskip(NEXT) | instid1(VALU_DEP_1)
	v_fmaak_f32 v7, s17, v6, 0x3ca908c9
	v_fmaak_f32 v7, v6, v7, 0xbd5c1c4e
	s_delay_alu instid0(VALU_DEP_1) | instskip(NEXT) | instid1(VALU_DEP_1)
	v_fmaak_f32 v7, v6, v7, 0x3e088382
	v_fmaak_f32 v7, v6, v7, 0xbeaaaa99
	s_delay_alu instid0(VALU_DEP_1) | instskip(NEXT) | instid1(VALU_DEP_1)
	v_mul_f32_e64 v7, |v4|, v7
	v_fma_f32 v6, v6, v7, |v4|
; %bb.37:                               ;   in Loop: Header=BB21_17 Depth=1
	s_or_b32 exec_lo, exec_lo, s18
	v_cmp_ngt_f32_e64 s18, 0x3f200000, |v5|
                                        ; implicit-def: $vgpr7
	s_delay_alu instid0(VALU_DEP_1) | instskip(NEXT) | instid1(SALU_CYCLE_1)
	s_and_saveexec_b32 s19, s18
	s_xor_b32 s18, exec_lo, s19
	s_cbranch_execz .LBB21_39
; %bb.38:                               ;   in Loop: Header=BB21_17 Depth=1
	v_add_f32_e64 v7, |v5|, |v5|
	s_delay_alu instid0(VALU_DEP_1) | instskip(SKIP_1) | instid1(VALU_DEP_2)
	v_mul_f32_e32 v8, 0x3fb8aa3b, v7
	v_cmp_ngt_f32_e32 vcc_lo, 0xc2ce8ed0, v7
	v_rndne_f32_e32 v9, v8
	v_fma_f32 v10, 0x3fb8aa3b, v7, -v8
	s_delay_alu instid0(VALU_DEP_2) | instskip(NEXT) | instid1(VALU_DEP_2)
	v_sub_f32_e32 v8, v8, v9
	v_fmac_f32_e32 v10, 0x32a5705f, v7
	v_cvt_i32_f32_e32 v9, v9
	s_delay_alu instid0(VALU_DEP_2) | instskip(NEXT) | instid1(VALU_DEP_1)
	v_add_f32_e32 v8, v8, v10
	v_exp_f32_e32 v8, v8
	s_waitcnt_depctr 0xfff
	v_ldexp_f32 v8, v8, v9
	s_delay_alu instid0(VALU_DEP_1) | instskip(SKIP_1) | instid1(VALU_DEP_2)
	v_cndmask_b32_e32 v8, 0, v8, vcc_lo
	v_cmp_nlt_f32_e32 vcc_lo, 0x42b17218, v7
	v_cndmask_b32_e32 v7, 0x7f800000, v8, vcc_lo
	s_delay_alu instid0(VALU_DEP_1) | instskip(NEXT) | instid1(VALU_DEP_1)
	v_add_f32_e32 v7, 1.0, v7
	v_rcp_f32_e32 v7, v7
	s_waitcnt_depctr 0xfff
	v_fma_f32 v7, v7, -2.0, 1.0
.LBB21_39:                              ;   in Loop: Header=BB21_17 Depth=1
	s_and_not1_saveexec_b32 s18, s18
; %bb.40:                               ;   in Loop: Header=BB21_17 Depth=1
	v_mul_f32_e32 v7, v5, v5
	s_delay_alu instid0(VALU_DEP_1) | instskip(NEXT) | instid1(VALU_DEP_1)
	v_fmaak_f32 v8, s17, v7, 0x3ca908c9
	v_fmaak_f32 v8, v7, v8, 0xbd5c1c4e
	s_delay_alu instid0(VALU_DEP_1) | instskip(NEXT) | instid1(VALU_DEP_1)
	v_fmaak_f32 v8, v7, v8, 0x3e088382
	v_fmaak_f32 v8, v7, v8, 0xbeaaaa99
	s_delay_alu instid0(VALU_DEP_1) | instskip(NEXT) | instid1(VALU_DEP_1)
	v_mul_f32_e64 v8, |v5|, v8
	v_fma_f32 v7, v7, v8, |v5|
; %bb.41:                               ;   in Loop: Header=BB21_17 Depth=1
	s_or_b32 exec_lo, exec_lo, s18
	v_bfi_b32 v4, 0x7fffffff, v6, v4
	s_delay_alu instid0(VALU_DEP_2) | instskip(SKIP_1) | instid1(VALU_DEP_3)
	v_bfi_b32 v5, 0x7fffffff, v7, v5
	v_cmp_ngt_f32_e64 s18, 0x3f200000, |v26|
                                        ; implicit-def: $vgpr71
	v_fma_f32 v74, s8, v4, v65
	s_delay_alu instid0(VALU_DEP_3) | instskip(NEXT) | instid1(VALU_DEP_1)
	v_fma_f32 v75, s8, v5, v64
	v_dual_add_f32 v4, 0x40051340, v74 :: v_dual_add_f32 v5, 0x40051340, v75
	s_delay_alu instid0(VALU_DEP_1) | instskip(SKIP_3) | instid1(VALU_DEP_1)
	v_max3_f32 v4, v23, v4, v5
	ds_bpermute_b32 v5, v68, v4
	s_waitcnt lgkmcnt(0)
	v_max_f32_e32 v5, v5, v5
	v_max_f32_e32 v4, v4, v5
	ds_bpermute_b32 v5, v67, v4
	s_waitcnt lgkmcnt(0)
	v_max_f32_e32 v5, v5, v5
	s_delay_alu instid0(VALU_DEP_1) | instskip(SKIP_3) | instid1(VALU_DEP_1)
	v_max_f32_e32 v4, v4, v5
	ds_bpermute_b32 v5, v66, v4
	s_waitcnt lgkmcnt(0)
	v_max_f32_e32 v5, v5, v5
	v_max_f32_e32 v4, v4, v5
	ds_bpermute_b32 v5, v63, v4
	s_waitcnt lgkmcnt(0)
	v_max_f32_e32 v5, v5, v5
	s_delay_alu instid0(VALU_DEP_1) | instskip(SKIP_2) | instid1(SALU_CYCLE_1)
	v_max_f32_e32 v61, v4, v5
	ds_bpermute_b32 v62, v3, v61
	s_and_saveexec_b32 s19, s18
	s_xor_b32 s18, exec_lo, s19
	s_cbranch_execz .LBB21_43
; %bb.42:                               ;   in Loop: Header=BB21_17 Depth=1
	v_add_f32_e64 v4, |v26|, |v26|
	s_delay_alu instid0(VALU_DEP_1) | instskip(SKIP_1) | instid1(VALU_DEP_2)
	v_mul_f32_e32 v5, 0x3fb8aa3b, v4
	v_cmp_ngt_f32_e32 vcc_lo, 0xc2ce8ed0, v4
	v_rndne_f32_e32 v6, v5
	v_fma_f32 v7, 0x3fb8aa3b, v4, -v5
	s_delay_alu instid0(VALU_DEP_2) | instskip(NEXT) | instid1(VALU_DEP_2)
	v_sub_f32_e32 v5, v5, v6
	v_fmac_f32_e32 v7, 0x32a5705f, v4
	v_cvt_i32_f32_e32 v6, v6
	s_delay_alu instid0(VALU_DEP_2) | instskip(NEXT) | instid1(VALU_DEP_1)
	v_add_f32_e32 v5, v5, v7
	v_exp_f32_e32 v5, v5
	s_waitcnt_depctr 0xfff
	v_ldexp_f32 v5, v5, v6
	s_delay_alu instid0(VALU_DEP_1) | instskip(SKIP_1) | instid1(VALU_DEP_2)
	v_cndmask_b32_e32 v5, 0, v5, vcc_lo
	v_cmp_nlt_f32_e32 vcc_lo, 0x42b17218, v4
	v_cndmask_b32_e32 v4, 0x7f800000, v5, vcc_lo
	s_delay_alu instid0(VALU_DEP_1) | instskip(NEXT) | instid1(VALU_DEP_1)
	v_add_f32_e32 v4, 1.0, v4
	v_rcp_f32_e32 v4, v4
	s_waitcnt_depctr 0xfff
	v_fma_f32 v71, v4, -2.0, 1.0
.LBB21_43:                              ;   in Loop: Header=BB21_17 Depth=1
	s_and_not1_saveexec_b32 s18, s18
; %bb.44:                               ;   in Loop: Header=BB21_17 Depth=1
	v_mul_f32_e32 v4, v26, v26
	s_delay_alu instid0(VALU_DEP_1) | instskip(NEXT) | instid1(VALU_DEP_1)
	v_fmaak_f32 v5, s17, v4, 0x3ca908c9
	v_fmaak_f32 v5, v4, v5, 0xbd5c1c4e
	s_delay_alu instid0(VALU_DEP_1) | instskip(NEXT) | instid1(VALU_DEP_1)
	v_fmaak_f32 v5, v4, v5, 0x3e088382
	v_fmaak_f32 v5, v4, v5, 0xbeaaaa99
	s_delay_alu instid0(VALU_DEP_1) | instskip(NEXT) | instid1(VALU_DEP_1)
	v_mul_f32_e64 v5, |v26|, v5
	v_fma_f32 v71, v4, v5, |v26|
; %bb.45:                               ;   in Loop: Header=BB21_17 Depth=1
	s_or_b32 exec_lo, exec_lo, s18
	v_cmp_ngt_f32_e64 s18, 0x3f200000, |v54|
                                        ; implicit-def: $vgpr76
	s_delay_alu instid0(VALU_DEP_1) | instskip(NEXT) | instid1(SALU_CYCLE_1)
	s_and_saveexec_b32 s19, s18
	s_xor_b32 s18, exec_lo, s19
	s_cbranch_execz .LBB21_47
; %bb.46:                               ;   in Loop: Header=BB21_17 Depth=1
	v_add_f32_e64 v4, |v54|, |v54|
	s_delay_alu instid0(VALU_DEP_1) | instskip(SKIP_1) | instid1(VALU_DEP_2)
	v_mul_f32_e32 v5, 0x3fb8aa3b, v4
	v_cmp_ngt_f32_e32 vcc_lo, 0xc2ce8ed0, v4
	v_rndne_f32_e32 v6, v5
	v_fma_f32 v7, 0x3fb8aa3b, v4, -v5
	s_delay_alu instid0(VALU_DEP_2) | instskip(NEXT) | instid1(VALU_DEP_2)
	v_sub_f32_e32 v5, v5, v6
	v_fmac_f32_e32 v7, 0x32a5705f, v4
	v_cvt_i32_f32_e32 v6, v6
	s_delay_alu instid0(VALU_DEP_2) | instskip(NEXT) | instid1(VALU_DEP_1)
	v_add_f32_e32 v5, v5, v7
	v_exp_f32_e32 v5, v5
	s_waitcnt_depctr 0xfff
	v_ldexp_f32 v5, v5, v6
	s_delay_alu instid0(VALU_DEP_1) | instskip(SKIP_1) | instid1(VALU_DEP_2)
	v_cndmask_b32_e32 v5, 0, v5, vcc_lo
	v_cmp_nlt_f32_e32 vcc_lo, 0x42b17218, v4
	v_cndmask_b32_e32 v4, 0x7f800000, v5, vcc_lo
	s_delay_alu instid0(VALU_DEP_1) | instskip(NEXT) | instid1(VALU_DEP_1)
	v_add_f32_e32 v4, 1.0, v4
	v_rcp_f32_e32 v4, v4
	s_waitcnt_depctr 0xfff
	v_fma_f32 v76, v4, -2.0, 1.0
.LBB21_47:                              ;   in Loop: Header=BB21_17 Depth=1
	s_and_not1_saveexec_b32 s18, s18
; %bb.48:                               ;   in Loop: Header=BB21_17 Depth=1
	v_mul_f32_e32 v4, v54, v54
	s_delay_alu instid0(VALU_DEP_1) | instskip(NEXT) | instid1(VALU_DEP_1)
	v_fmaak_f32 v5, s17, v4, 0x3ca908c9
	v_fmaak_f32 v5, v4, v5, 0xbd5c1c4e
	s_delay_alu instid0(VALU_DEP_1) | instskip(NEXT) | instid1(VALU_DEP_1)
	v_fmaak_f32 v5, v4, v5, 0x3e088382
	v_fmaak_f32 v5, v4, v5, 0xbeaaaa99
	s_delay_alu instid0(VALU_DEP_1) | instskip(NEXT) | instid1(VALU_DEP_1)
	v_mul_f32_e64 v5, |v54|, v5
	v_fma_f32 v76, v4, v5, |v54|
; %bb.49:                               ;   in Loop: Header=BB21_17 Depth=1
	s_or_b32 exec_lo, exec_lo, s18
	s_mul_hi_i32 s19, s4, s5
	s_mul_i32 s18, s4, s5
	v_dual_max_f32 v77, v60, v60 :: v_dual_max_f32 v2, v2, v2
	s_lshl_b64 s[18:19], s[18:19], 2
	v_max_f32_e32 v78, v1, v1
	s_add_u32 s18, s11, s18
	s_addc_u32 s19, s16, s19
	v_add_co_u32 v4, vcc_lo, s18, v19
	s_waitcnt lgkmcnt(0)
	v_dual_max_f32 v0, v0, v0 :: v_dual_max_f32 v79, v62, v62
	v_dual_max_f32 v1, v2, v77 :: v_dual_add_nc_u32 v62, 0x3800, v36
	v_add_co_ci_u32_e32 v5, vcc_lo, s19, v20, vcc_lo
	v_add_co_u32 v6, vcc_lo, s18, v21
	v_add_co_ci_u32_e32 v7, vcc_lo, s19, v22, vcc_lo
	v_bfi_b32 v26, 0x7fffffff, v71, v26
	v_bfi_b32 v76, 0x7fffffff, v76, v54
	v_dual_max_f32 v80, v61, v61 :: v_dual_add_nc_u32 v71, v35, v36
	v_add_nc_u32_e32 v61, 0x4000, v36
	v_dual_sub_f32 v73, v73, v1 :: v_dual_add_nc_u32 v54, 0x4800, v36
	v_max_f32_e32 v0, v0, v78
	v_add_co_u32 v4, vcc_lo, v4, v40
	v_add_co_ci_u32_e32 v5, vcc_lo, 0, v5, vcc_lo
	s_delay_alu instid0(VALU_DEP_4)
	v_mul_f32_e32 v81, 0x3fb8aa3b, v73
	v_add_co_u32 v8, vcc_lo, v6, v40
	v_dual_fmac_f32 v65, s8, v26 :: v_dual_add_nc_u32 v60, 0x3000, v36
	v_dual_max_f32 v2, v80, v79 :: v_dual_sub_f32 v69, v69, v0
	v_fmac_f32_e32 v64, s8, v76
	v_add_co_ci_u32_e32 v9, vcc_lo, 0, v7, vcc_lo
	s_delay_alu instid0(VALU_DEP_3)
	v_sub_f32_e32 v75, v75, v2
	s_barrier
	buffer_gl0_inv
	s_clause 0x1
	global_load_b128 v[4:7], v[4:5], off
	global_load_b128 v[8:11], v[8:9], off
	v_dual_add_f32 v26, 0x40051340, v65 :: v_dual_sub_f32 v77, v24, v0
	v_add_f32_e32 v76, 0x40051340, v64
	v_sub_f32_e32 v74, v74, v2
	v_sub_f32_e32 v70, v70, v0
	s_or_b32 s18, s4, 32
	v_mul_f32_e32 v83, 0x3fb8aa3b, v77
	v_max3_f32 v24, v53, v26, v76
	v_dual_sub_f32 v76, v25, v1 :: v_dual_mul_f32 v87, 0x3fb8aa3b, v74
	s_mul_hi_i32 s19, s18, s5
	s_mul_i32 s18, s18, s5
	ds_bpermute_b32 v25, v68, v24
	v_dual_sub_f32 v68, v72, v1 :: v_dual_mul_f32 v85, 0x3fb8aa3b, v76
	s_lshl_b64 s[18:19], s[18:19], 2
	v_rndne_f32_e32 v91, v81
	v_mul_f32_e32 v82, 0x3fb8aa3b, v69
	s_add_u32 s18, s11, s18
	s_addc_u32 s19, s16, s19
	v_fma_f32 v90, 0x3fb8aa3b, v73, -v81
	v_sub_f32_e32 v81, v81, v91
	v_rndne_f32_e32 v93, v82
	v_rndne_f32_e32 v95, v83
	v_mul_f32_e32 v84, 0x3fb8aa3b, v68
	v_fma_f32 v92, 0x3fb8aa3b, v69, -v82
	v_fma_f32 v94, 0x3fb8aa3b, v77, -v83
	;; [unrolled: 1-line block ×3, first 2 shown]
	v_sub_f32_e32 v83, v83, v95
	v_fma_f32 v96, 0x3fb8aa3b, v68, -v84
	v_rndne_f32_e32 v99, v85
	v_rndne_f32_e32 v97, v84
	s_waitcnt lgkmcnt(0)
	v_dual_max_f32 v25, v25, v25 :: v_dual_sub_f32 v72, v23, v2
	v_add_co_u32 v23, vcc_lo, s18, v19
	v_add_co_ci_u32_e32 v26, vcc_lo, s19, v20, vcc_lo
	s_delay_alu instid0(VALU_DEP_3)
	v_max_f32_e32 v89, v24, v25
	v_add_co_u32 v78, vcc_lo, s18, v21
	v_add_co_ci_u32_e32 v79, vcc_lo, s19, v22, vcc_lo
	ds_bpermute_b32 v67, v67, v89
	v_add_co_u32 v23, vcc_lo, v23, v40
	v_add_co_ci_u32_e32 v24, vcc_lo, 0, v26, vcc_lo
	v_add_co_u32 v25, vcc_lo, v78, v40
	v_add_co_ci_u32_e32 v26, vcc_lo, 0, v79, vcc_lo
	v_dual_mul_f32 v88, 0x3fb8aa3b, v72 :: v_dual_sub_f32 v85, v85, v99
	v_rndne_f32_e32 v103, v87
	v_fmac_f32_e32 v98, 0x32a5705f, v76
	v_sub_f32_e32 v84, v84, v97
	v_cmp_ngt_f32_e32 vcc_lo, 0xc2ce8ed0, v70
	v_fma_f32 v104, 0x3fb8aa3b, v72, -v88
	v_rndne_f32_e32 v105, v88
	s_waitcnt lgkmcnt(0)
	v_dual_max_f32 v67, v67, v67 :: v_dual_mul_f32 v80, 0x3fb8aa3b, v70
	v_fma_f32 v102, 0x3fb8aa3b, v74, -v87
	v_sub_f32_e32 v87, v87, v103
	s_delay_alu instid0(VALU_DEP_3) | instskip(NEXT) | instid1(VALU_DEP_4)
	v_max_f32_e32 v67, v89, v67
	v_fma_f32 v78, 0x3fb8aa3b, v70, -v80
	v_rndne_f32_e32 v79, v80
	v_cvt_i32_f32_e32 v89, v91
	v_cvt_i32_f32_e32 v91, v93
	ds_bpermute_b32 v66, v66, v67
	v_fmac_f32_e32 v78, 0x32a5705f, v70
	v_sub_f32_e32 v80, v80, v79
	v_cvt_i32_f32_e32 v79, v79
	s_waitcnt lgkmcnt(0)
	v_max_f32_e32 v66, v66, v66
	s_delay_alu instid0(VALU_DEP_1)
	v_max_f32_e32 v66, v67, v66
	v_add_f32_e32 v67, v85, v98
	v_add_f32_e32 v78, v80, v78
	ds_bpermute_b32 v63, v63, v66
	v_sub_f32_e32 v82, v82, v93
	v_exp_f32_e32 v78, v78
	v_cvt_i32_f32_e32 v93, v95
	v_cvt_i32_f32_e32 v95, v97
	v_exp_f32_e32 v67, v67
	v_cvt_i32_f32_e32 v97, v99
	s_waitcnt_depctr 0xfff
	v_ldexp_f32 v78, v78, v79
	v_ldexp_f32 v67, v67, v97
	s_delay_alu instid0(VALU_DEP_2) | instskip(SKIP_3) | instid1(VALU_DEP_1)
	v_cndmask_b32_e32 v78, 0, v78, vcc_lo
	v_cmp_ngt_f32_e32 vcc_lo, 0xc2ce8ed0, v73
	s_waitcnt lgkmcnt(0)
	v_dual_max_f32 v63, v63, v63 :: v_dual_fmac_f32 v96, 0x32a5705f, v68
	v_dual_max_f32 v63, v66, v63 :: v_dual_fmac_f32 v90, 0x32a5705f, v73
	ds_bpermute_b32 v3, v3, v63
	v_add_f32_e32 v80, v81, v90
	v_fmac_f32_e32 v102, 0x32a5705f, v74
	s_delay_alu instid0(VALU_DEP_2) | instskip(SKIP_4) | instid1(VALU_DEP_2)
	v_exp_f32_e32 v80, v80
	s_waitcnt_depctr 0xfff
	v_ldexp_f32 v79, v80, v89
	s_waitcnt lgkmcnt(0)
	v_dual_fmac_f32 v94, 0x32a5705f, v77 :: v_dual_max_f32 v3, v3, v3
	v_dual_cndmask_b32 v79, 0, v79 :: v_dual_fmac_f32 v92, 0x32a5705f, v69
	v_dual_add_f32 v85, v87, v102 :: v_dual_mul_f32 v86, 0x3fb8aa3b, v75
	s_delay_alu instid0(VALU_DEP_3) | instskip(NEXT) | instid1(VALU_DEP_3)
	v_dual_fmac_f32 v104, 0x32a5705f, v72 :: v_dual_max_f32 v3, v63, v3
	v_dual_add_f32 v81, v82, v92 :: v_dual_add_f32 v82, v83, v94
	s_delay_alu instid0(VALU_DEP_3) | instskip(SKIP_1) | instid1(VALU_DEP_4)
	v_fma_f32 v100, 0x3fb8aa3b, v75, -v86
	v_rndne_f32_e32 v101, v86
	v_sub_f32_e32 v53, v53, v3
	s_delay_alu instid0(VALU_DEP_4)
	v_exp_f32_e32 v81, v81
	v_add_f32_e32 v83, v84, v96
	v_exp_f32_e32 v82, v82
	v_fmac_f32_e32 v100, 0x32a5705f, v75
	v_sub_f32_e32 v86, v86, v101
	v_cmp_ngt_f32_e32 vcc_lo, 0xc2ce8ed0, v69
	v_exp_f32_e32 v83, v83
	v_cvt_i32_f32_e32 v99, v101
	v_exp_f32_e32 v85, v85
	v_add_f32_e32 v84, v86, v100
	v_ldexp_f32 v80, v81, v91
	v_cvt_i32_f32_e32 v101, v103
	v_ldexp_f32 v81, v82, v93
	v_cvt_i32_f32_e32 v87, v105
	v_exp_f32_e32 v84, v84
	v_cndmask_b32_e32 v66, 0, v80, vcc_lo
	v_cmp_ngt_f32_e32 vcc_lo, 0xc2ce8ed0, v77
	v_ldexp_f32 v82, v83, v95
	v_cndmask_b32_e32 v80, 0, v81, vcc_lo
	v_sub_f32_e32 v88, v88, v105
	v_cmp_ngt_f32_e32 vcc_lo, 0xc2ce8ed0, v68
	s_delay_alu instid0(TRANS32_DEP_1) | instskip(SKIP_1) | instid1(VALU_DEP_4)
	v_ldexp_f32 v83, v84, v99
	v_ldexp_f32 v84, v85, v101
	v_dual_add_f32 v86, v88, v104 :: v_dual_cndmask_b32 v81, 0, v82
	v_cmp_ngt_f32_e32 vcc_lo, 0xc2ce8ed0, v76
	s_delay_alu instid0(VALU_DEP_2)
	v_exp_f32_e32 v86, v86
	v_cndmask_b32_e32 v67, 0, v67, vcc_lo
	v_cmp_ngt_f32_e32 vcc_lo, 0xc2ce8ed0, v75
	v_cndmask_b32_e32 v82, 0, v83, vcc_lo
	v_cmp_ngt_f32_e32 vcc_lo, 0xc2ce8ed0, v74
	s_waitcnt_depctr 0xfff
	v_ldexp_f32 v85, v86, v87
	v_cndmask_b32_e32 v83, 0, v84, vcc_lo
	v_cmp_ngt_f32_e32 vcc_lo, 0xc2ce8ed0, v72
	s_delay_alu instid0(VALU_DEP_3)
	v_cndmask_b32_e32 v84, 0, v85, vcc_lo
	v_cmp_nlt_f32_e32 vcc_lo, 0x42b17218, v70
	v_cndmask_b32_e32 v70, 0x7f800000, v78, vcc_lo
	v_cmp_nlt_f32_e32 vcc_lo, 0x42b17218, v73
	;; [unrolled: 2-line block ×4, first 2 shown]
	v_mul_f32_e32 v77, 0x3fb8aa3b, v53
	s_delay_alu instid0(VALU_DEP_3) | instskip(SKIP_2) | instid1(VALU_DEP_2)
	v_add_f32_e32 v63, v66, v70
	v_cndmask_b32_e32 v69, 0x7f800000, v80, vcc_lo
	v_cmp_nlt_f32_e32 vcc_lo, 0x42b17218, v68
	v_fmac_f32_e32 v63, v52, v69
	v_cndmask_b32_e32 v68, 0x7f800000, v81, vcc_lo
	v_cmp_nlt_f32_e32 vcc_lo, 0x42b17218, v76
	v_cvt_f16_f32_e32 v76, v73
	v_cvt_f16_f32_e64 v180, v69
	v_cndmask_b32_e32 v178, 0x7f800000, v67, vcc_lo
	v_cmp_nlt_f32_e32 vcc_lo, 0x42b17218, v75
	v_sub_f32_e32 v75, v64, v3
	s_delay_alu instid0(VALU_DEP_4) | instskip(NEXT) | instid1(VALU_DEP_4)
	v_pk_mul_f16 v48, v180, v48 op_sel_hi:[0,1]
	v_cvt_f16_f32_e64 v181, v178
	v_cndmask_b32_e32 v67, 0x7f800000, v82, vcc_lo
	v_cmp_nlt_f32_e32 vcc_lo, 0x42b17218, v74
	v_fma_f32 v82, 0x3fb8aa3b, v53, -v77
	s_delay_alu instid0(VALU_DEP_4)
	v_pk_mul_f16 v47, v181, v47 op_sel_hi:[0,1]
	v_cndmask_b32_e32 v74, 0x7f800000, v83, vcc_lo
	v_cmp_nlt_f32_e32 vcc_lo, 0x42b17218, v72
	v_sub_f32_e32 v72, v65, v3
	v_rndne_f32_e32 v83, v77
	v_mul_f32_e32 v65, 0x3fb8aa3b, v75
	v_fmac_f32_e32 v82, 0x32a5705f, v53
	s_delay_alu instid0(VALU_DEP_3) | instskip(NEXT) | instid1(VALU_DEP_3)
	v_dual_mul_f32 v64, 0x3fb8aa3b, v72 :: v_dual_sub_f32 v77, v77, v83
	v_fma_f32 v80, 0x3fb8aa3b, v75, -v65
	v_rndne_f32_e32 v81, v65
	s_delay_alu instid0(VALU_DEP_3)
	v_fma_f32 v78, 0x3fb8aa3b, v72, -v64
	v_rndne_f32_e32 v79, v64
	v_add_f32_e32 v77, v77, v82
	v_cndmask_b32_e32 v179, 0x7f800000, v84, vcc_lo
	v_fmac_f32_e32 v80, 0x32a5705f, v75
	v_fmac_f32_e32 v78, 0x32a5705f, v72
	v_dual_sub_f32 v84, v64, v79 :: v_dual_sub_f32 v65, v65, v81
	v_add_f32_e32 v64, v73, v68
	v_cvt_i32_f32_e32 v79, v79
	v_exp_f32_e32 v77, v77
	s_delay_alu instid0(VALU_DEP_3) | instskip(SKIP_3) | instid1(VALU_DEP_4)
	v_dual_add_f32 v73, v84, v78 :: v_dual_add_f32 v78, v65, v80
	v_cvt_i32_f32_e32 v80, v81
	v_cmp_ngt_f32_e32 vcc_lo, 0xc2ce8ed0, v72
	v_cvt_i32_f32_e32 v81, v83
	v_exp_f32_e32 v73, v73
	v_exp_f32_e32 v78, v78
	v_add_f32_e32 v65, v74, v67
	v_cvt_f16_f32_e32 v70, v70
	s_delay_alu instid0(TRANS32_DEP_3)
	v_ldexp_f32 v69, v77, v81
	v_cvt_f16_f32_e32 v68, v68
	v_cvt_f16_f32_e32 v67, v67
	;; [unrolled: 1-line block ×3, first 2 shown]
	v_fmac_f32_e32 v65, v50, v179
	v_cvt_f16_f32_e32 v66, v66
	v_ldexp_f32 v73, v73, v79
	v_ldexp_f32 v52, v78, v80
	v_cvt_f16_f32_e64 v182, v179
	s_delay_alu instid0(VALU_DEP_3) | instskip(SKIP_1) | instid1(VALU_DEP_3)
	v_cndmask_b32_e32 v73, 0, v73, vcc_lo
	v_cmp_ngt_f32_e32 vcc_lo, 0xc2ce8ed0, v75
	v_pk_mul_f16 v45, v182, v45 op_sel_hi:[0,1]
	v_cndmask_b32_e32 v52, 0, v52, vcc_lo
	v_cmp_ngt_f32_e32 vcc_lo, 0xc2ce8ed0, v53
	v_cndmask_b32_e32 v69, 0, v69, vcc_lo
	v_cmp_nlt_f32_e32 vcc_lo, 0x42b17218, v72
	v_cndmask_b32_e32 v183, 0x7f800000, v73, vcc_lo
	v_cmp_nlt_f32_e32 vcc_lo, 0x42b17218, v75
	;; [unrolled: 2-line block ×3, first 2 shown]
	s_delay_alu instid0(VALU_DEP_4)
	v_cvt_f16_f32_e64 v53, v183
	v_pack_b32_f16 v52, v66, v76
	v_pack_b32_f16 v66, v70, v68
	v_cndmask_b32_e32 v185, 0x7f800000, v69, vcc_lo
	v_cvt_f16_f32_e64 v69, v184
	v_pack_b32_f16 v53, v74, v53
	v_fmac_f32_e32 v64, v49, v178
	s_delay_alu instid0(VALU_DEP_4) | instskip(NEXT) | instid1(VALU_DEP_4)
	v_cvt_f16_f32_e64 v68, v185
	v_pack_b32_f16 v67, v67, v69
	ds_store_2addr_b64 v71, v[52:53], v[66:67] offset1:32
	s_waitcnt vmcnt(1)
	ds_store_b128 v37, v[4:7]
	s_waitcnt vmcnt(0)
	ds_store_b128 v38, v[8:11]
	v_pk_mul_f16 v43, v68, v43 op_sel_hi:[0,1]
	v_pk_mul_f16 v41, v68, v41 op_sel_hi:[0,1]
	s_waitcnt lgkmcnt(0)
	s_barrier
	buffer_gl0_inv
	ds_load_2addr_b64 v[4:7], v60 offset1:32
	ds_load_b128 v[8:11], v35
	ds_load_b128 v[66:69], v35 offset:16
	ds_load_b128 v[70:73], v35 offset:32
	;; [unrolled: 1-line block ×3, first 2 shown]
	ds_load_2addr_b64 v[78:81], v60 offset0:64 offset1:96
	ds_load_2addr_b64 v[82:85], v60 offset0:128 offset1:160
	;; [unrolled: 1-line block ×3, first 2 shown]
	ds_load_2addr_b64 v[90:93], v62 offset1:32
	ds_load_2addr_b64 v[94:97], v62 offset0:64 offset1:96
	ds_load_b128 v[98:101], v35 offset:64
	ds_load_b128 v[102:105], v35 offset:80
	ds_load_2addr_b64 v[106:109], v62 offset0:128 offset1:160
	ds_load_2addr_b64 v[110:113], v62 offset0:192 offset1:224
	ds_load_b128 v[114:117], v35 offset:96
	ds_load_b128 v[118:121], v35 offset:112
	ds_load_2addr_b64 v[122:125], v61 offset1:32
	ds_load_2addr_b64 v[126:129], v61 offset0:64 offset1:96
	ds_load_b128 v[130:133], v35 offset:128
	ds_load_b128 v[134:137], v35 offset:144
	ds_load_2addr_b64 v[138:141], v61 offset0:128 offset1:160
	ds_load_2addr_b64 v[142:145], v61 offset0:192 offset1:224
	ds_load_b128 v[146:149], v35 offset:160
	ds_load_b128 v[150:153], v35 offset:176
	ds_load_2addr_b64 v[154:157], v54 offset1:32
	ds_load_2addr_b64 v[158:161], v54 offset0:64 offset1:96
	s_waitcnt lgkmcnt(24)
	v_pk_mul_f16 v52, v4, v8 op_sel_hi:[1,0]
	v_pk_mul_f16 v53, v4, v9 op_sel_hi:[1,0]
	v_pk_fma_f16 v45, v5, v9, v45 op_sel_hi:[1,0,1]
	ds_load_b128 v[162:165], v35 offset:192
	ds_load_b128 v[166:169], v35 offset:208
	ds_load_2addr_b64 v[170:173], v54 offset0:128 offset1:160
	ds_load_2addr_b64 v[174:177], v54 offset0:192 offset1:224
	v_pk_fma_f16 v46, v180, v46, v52 op_sel_hi:[0,1,1]
	v_pk_mul_f16 v52, v4, v8 op_sel:[0,1]
	v_pk_fma_f16 v4, v4, v9, v43 op_sel:[0,1,0]
	v_pk_fma_f16 v43, v5, v8, v48 op_sel_hi:[1,0,1]
	v_pk_fma_f16 v8, v5, v8, v47 op_sel:[0,1,0]
	v_pk_fma_f16 v5, v5, v9, v41 op_sel:[0,1,0]
	v_pk_fma_f16 v9, v181, v44, v52 op_sel_hi:[0,1,1]
	v_pk_fma_f16 v41, v182, v42, v53 op_sel_hi:[0,1,1]
	v_pk_fma_f16 v52, v6, v11, v4 op_sel:[0,1,0]
	v_pk_fma_f16 v53, v7, v10, v43 op_sel_hi:[1,0,1]
	v_pk_fma_f16 v180, v7, v10, v8 op_sel:[0,1,0]
	;; [unrolled: 2-line block ×4, first 2 shown]
	v_pk_fma_f16 v10, v6, v11, v41 op_sel_hi:[1,0,1]
	ds_load_b128 v[5:8], v35 offset:224
	ds_load_b128 v[41:44], v35 offset:240
	s_waitcnt lgkmcnt(0)
	s_barrier
	buffer_gl0_inv
	s_clause 0x1
	global_load_b128 v[45:48], v[23:24], off
	global_load_b128 v[23:26], v[25:26], off
	v_add_f32_e32 v4, v183, v184
	v_pk_fma_f16 v11, v78, v67, v52 op_sel:[0,1,0]
	v_pk_fma_f16 v49, v79, v66, v53 op_sel_hi:[1,0,1]
	v_pk_fma_f16 v50, v79, v66, v180 op_sel:[0,1,0]
	v_pk_fma_f16 v52, v79, v67, v182 op_sel:[0,1,0]
	v_fmac_f32_e32 v4, v51, v185
	v_pk_fma_f16 v51, v79, v67, v181 op_sel_hi:[1,0,1]
	v_pk_fma_f16 v53, v78, v66, v186 op_sel_hi:[1,0,1]
	v_pk_fma_f16 v9, v78, v66, v9 op_sel:[0,1,0]
	v_pk_fma_f16 v10, v78, v67, v10 op_sel_hi:[1,0,1]
	v_pk_fma_f16 v11, v80, v69, v11 op_sel:[0,1,0]
	;; [unrolled: 2-line block ×106, first 2 shown]
	v_pk_fma_f16 v10, v173, v7, v49 op_sel_hi:[1,0,1]
	v_pk_fma_f16 v49, v173, v8, v51 op_sel_hi:[1,0,1]
	;; [unrolled: 1-line block ×3, first 2 shown]
	v_pk_fma_f16 v5, v172, v7, v5 op_sel:[0,1,0]
	v_pk_fma_f16 v6, v172, v8, v6 op_sel_hi:[1,0,1]
	v_pk_fma_f16 v11, v173, v7, v50 op_sel:[0,1,0]
	v_pk_fma_f16 v50, v173, v8, v52 op_sel:[0,1,0]
	;; [unrolled: 1-line block ×3, first 2 shown]
	v_pk_fma_f16 v8, v175, v41, v10 op_sel_hi:[1,0,1]
	v_pk_fma_f16 v10, v175, v42, v49 op_sel_hi:[1,0,1]
	v_pk_fma_f16 v49, v174, v41, v51 op_sel_hi:[1,0,1]
	v_pk_fma_f16 v5, v174, v41, v5 op_sel:[0,1,0]
	v_pk_fma_f16 v6, v174, v42, v6 op_sel_hi:[1,0,1]
	v_pk_fma_f16 v9, v175, v41, v11 op_sel:[0,1,0]
	v_pk_fma_f16 v11, v175, v42, v50 op_sel:[0,1,0]
	;; [unrolled: 1-line block ×3, first 2 shown]
	v_pk_fma_f16 v142, v177, v43, v8 op_sel_hi:[1,0,1]
	v_pk_fma_f16 v143, v176, v43, v49 op_sel_hi:[1,0,1]
	v_pk_fma_f16 v144, v176, v43, v5 op_sel:[0,1,0]
	v_pk_fma_f16 v145, v176, v44, v6 op_sel_hi:[1,0,1]
	v_pk_fma_f16 v9, v177, v43, v9 op_sel:[0,1,0]
	;; [unrolled: 2-line block ×3, first 2 shown]
	s_waitcnt vmcnt(1)
	ds_store_b128 v37, v[45:48]
	s_waitcnt vmcnt(0)
	ds_store_b128 v38, v[23:26]
	s_waitcnt lgkmcnt(0)
	s_barrier
	buffer_gl0_inv
	ds_load_2addr_b64 v[5:8], v60 offset1:32
	ds_load_b128 v[23:26], v35 offset:256
	ds_load_b128 v[41:44], v35 offset:272
	;; [unrolled: 1-line block ×4, first 2 shown]
	ds_load_2addr_b64 v[66:69], v60 offset0:64 offset1:96
	ds_load_2addr_b64 v[70:73], v60 offset0:128 offset1:160
	;; [unrolled: 1-line block ×3, first 2 shown]
	ds_load_2addr_b64 v[78:81], v62 offset1:32
	ds_load_2addr_b64 v[82:85], v62 offset0:64 offset1:96
	ds_load_b128 v[86:89], v35 offset:320
	ds_load_b128 v[90:93], v35 offset:336
	ds_load_2addr_b64 v[94:97], v62 offset0:128 offset1:160
	ds_load_2addr_b64 v[98:101], v62 offset0:192 offset1:224
	ds_load_b128 v[102:105], v35 offset:352
	ds_load_b128 v[106:109], v35 offset:368
	ds_load_2addr_b64 v[110:113], v61 offset1:32
	ds_load_2addr_b64 v[114:117], v61 offset0:64 offset1:96
	ds_load_b128 v[118:121], v35 offset:384
	ds_load_b128 v[122:125], v35 offset:400
	ds_load_2addr_b64 v[126:129], v61 offset0:128 offset1:160
	ds_load_2addr_b64 v[130:133], v61 offset0:192 offset1:224
	ds_load_b128 v[134:137], v35 offset:416
	ds_load_b128 v[138:141], v35 offset:432
	s_waitcnt lgkmcnt(22)
	v_pk_fma_f16 v60, v5, v23, v143 op_sel_hi:[1,0,1]
	v_pk_fma_f16 v61, v5, v23, v144 op_sel:[0,1,0]
	v_pk_fma_f16 v62, v5, v24, v145 op_sel_hi:[1,0,1]
	v_pk_fma_f16 v5, v5, v24, v53 op_sel:[0,1,0]
	;; [unrolled: 2-line block ×8, first 2 shown]
	s_waitcnt lgkmcnt(18)
	v_pk_fma_f16 v8, v66, v41, v11 op_sel_hi:[1,0,1]
	v_pk_fma_f16 v11, v66, v41, v23 op_sel:[0,1,0]
	v_pk_fma_f16 v23, v66, v42, v24 op_sel_hi:[1,0,1]
	v_pk_fma_f16 v5, v66, v42, v5 op_sel:[0,1,0]
	;; [unrolled: 2-line block ×3, first 2 shown]
	v_pk_fma_f16 v8, v68, v43, v8 op_sel_hi:[1,0,1]
	v_pk_fma_f16 v23, v68, v44, v23 op_sel_hi:[1,0,1]
	v_pk_fma_f16 v5, v68, v44, v5 op_sel:[0,1,0]
	v_pk_fma_f16 v7, v69, v43, v7 op_sel_hi:[1,0,1]
	v_pk_fma_f16 v9, v67, v41, v9 op_sel:[0,1,0]
	v_pk_fma_f16 v10, v67, v42, v10 op_sel_hi:[1,0,1]
	v_pk_fma_f16 v11, v68, v43, v11 op_sel:[0,1,0]
	v_pk_fma_f16 v6, v69, v44, v6 op_sel:[0,1,0]
	s_waitcnt lgkmcnt(17)
	v_pk_fma_f16 v8, v70, v45, v8 op_sel_hi:[1,0,1]
	v_pk_fma_f16 v23, v70, v46, v23 op_sel_hi:[1,0,1]
	v_pk_fma_f16 v5, v70, v46, v5 op_sel:[0,1,0]
	v_pk_fma_f16 v7, v71, v45, v7 op_sel_hi:[1,0,1]
	v_pk_fma_f16 v9, v69, v43, v9 op_sel:[0,1,0]
	v_pk_fma_f16 v10, v69, v44, v10 op_sel_hi:[1,0,1]
	v_pk_fma_f16 v11, v70, v45, v11 op_sel:[0,1,0]
	v_pk_fma_f16 v6, v71, v46, v6 op_sel:[0,1,0]
	v_pk_fma_f16 v8, v72, v47, v8 op_sel_hi:[1,0,1]
	v_pk_fma_f16 v23, v72, v48, v23 op_sel_hi:[1,0,1]
	v_pk_fma_f16 v5, v72, v48, v5 op_sel:[0,1,0]
	v_pk_fma_f16 v7, v73, v47, v7 op_sel_hi:[1,0,1]
	v_pk_fma_f16 v9, v71, v45, v9 op_sel:[0,1,0]
	v_pk_fma_f16 v10, v71, v46, v10 op_sel_hi:[1,0,1]
	v_pk_fma_f16 v11, v72, v47, v11 op_sel:[0,1,0]
	v_pk_fma_f16 v6, v73, v48, v6 op_sel:[0,1,0]
	s_waitcnt lgkmcnt(16)
	v_pk_fma_f16 v8, v74, v49, v8 op_sel_hi:[1,0,1]
	v_pk_fma_f16 v23, v74, v50, v23 op_sel_hi:[1,0,1]
	v_pk_fma_f16 v5, v74, v50, v5 op_sel:[0,1,0]
	v_pk_fma_f16 v7, v75, v49, v7 op_sel_hi:[1,0,1]
	v_pk_fma_f16 v9, v73, v47, v9 op_sel:[0,1,0]
	v_pk_fma_f16 v10, v73, v48, v10 op_sel_hi:[1,0,1]
	v_pk_fma_f16 v11, v74, v49, v11 op_sel:[0,1,0]
	v_pk_fma_f16 v6, v75, v50, v6 op_sel:[0,1,0]
	;; [unrolled: 17-line block ×9, first 2 shown]
	v_pk_fma_f16 v42, v128, v136, v8 op_sel_hi:[1,0,1]
	v_pk_fma_f16 v43, v128, v137, v23 op_sel_hi:[1,0,1]
	v_pk_fma_f16 v44, v128, v137, v5 op_sel:[0,1,0]
	v_pk_fma_f16 v45, v129, v136, v7 op_sel_hi:[1,0,1]
	ds_load_2addr_b64 v[5:8], v54 offset1:32
	ds_load_b128 v[23:26], v35 offset:448
	v_pk_fma_f16 v9, v127, v134, v9 op_sel:[0,1,0]
	v_pk_fma_f16 v10, v127, v135, v10 op_sel_hi:[1,0,1]
	v_pk_fma_f16 v11, v128, v136, v11 op_sel:[0,1,0]
	v_pk_fma_f16 v41, v129, v137, v41 op_sel:[0,1,0]
	s_waitcnt lgkmcnt(2)
	v_pk_fma_f16 v42, v130, v138, v42 op_sel_hi:[1,0,1]
	v_pk_fma_f16 v9, v129, v136, v9 op_sel:[0,1,0]
	v_pk_fma_f16 v10, v129, v137, v10 op_sel_hi:[1,0,1]
	v_pk_fma_f16 v11, v130, v138, v11 op_sel:[0,1,0]
	;; [unrolled: 2-line block ×7, first 2 shown]
	v_pk_fma_f16 v53, v133, v140, v45 op_sel_hi:[1,0,1]
	ds_load_2addr_b64 v[41:44], v54 offset0:64 offset1:96
	ds_load_b128 v[45:48], v35 offset:464
	v_pk_fma_f16 v9, v133, v140, v9 op_sel:[0,1,0]
	v_pk_fma_f16 v10, v133, v141, v10 op_sel_hi:[1,0,1]
	v_pk_fma_f16 v49, v133, v141, v49 op_sel:[0,1,0]
	s_waitcnt lgkmcnt(2)
	v_pk_fma_f16 v50, v5, v23, v50 op_sel_hi:[1,0,1]
	v_pk_fma_f16 v11, v5, v23, v11 op_sel:[0,1,0]
	v_pk_fma_f16 v51, v5, v24, v51 op_sel_hi:[1,0,1]
	v_pk_fma_f16 v5, v5, v24, v52 op_sel:[0,1,0]
	;; [unrolled: 2-line block ×6, first 2 shown]
	v_pk_fma_f16 v7, v8, v25, v52 op_sel_hi:[1,0,1]
	ds_load_2addr_b64 v[49:52], v54 offset0:128 offset1:160
	ds_load_b128 v[66:69], v35 offset:480
	v_pk_fma_f16 v9, v8, v25, v9 op_sel:[0,1,0]
	v_pk_fma_f16 v10, v8, v26, v10 op_sel_hi:[1,0,1]
	v_pk_fma_f16 v6, v8, v26, v6 op_sel:[0,1,0]
	s_waitcnt lgkmcnt(2)
	v_pk_fma_f16 v8, v41, v45, v23 op_sel_hi:[1,0,1]
	v_pk_fma_f16 v11, v41, v45, v11 op_sel:[0,1,0]
	v_pk_fma_f16 v23, v41, v46, v24 op_sel_hi:[1,0,1]
	v_pk_fma_f16 v5, v41, v46, v5 op_sel:[0,1,0]
	;; [unrolled: 2-line block ×8, first 2 shown]
	ds_load_b128 v[5:8], v35 offset:496
	s_waitcnt lgkmcnt(1)
	v_pk_fma_f16 v45, v49, v66, v24 op_sel_hi:[1,0,1]
	ds_load_2addr_b64 v[23:26], v54 offset0:192 offset1:224
	s_waitcnt lgkmcnt(0)
	s_barrier
	buffer_gl0_inv
	s_load_b32 s18, s[2:3], 0x4
	v_pk_fma_f16 v11, v49, v66, v11 op_sel:[0,1,0]
	v_pk_fma_f16 v41, v49, v67, v41 op_sel_hi:[1,0,1]
	v_pk_fma_f16 v42, v49, v67, v42 op_sel:[0,1,0]
	v_pk_fma_f16 v43, v50, v66, v43 op_sel_hi:[1,0,1]
	;; [unrolled: 2-line block ×11, first 2 shown]
	v_pk_fma_f16 v6, v24, v6, v44 op_sel:[0,1,0]
	s_waitcnt lgkmcnt(0)
	s_lshl_b32 s18, s18, 6
	v_pk_fma_f16 v46, v25, v7, v45 op_sel_hi:[1,0,1]
	v_pk_fma_f16 v44, v25, v7, v11 op_sel:[0,1,0]
	v_pk_fma_f16 v42, v25, v8, v41 op_sel_hi:[1,0,1]
	v_pk_fma_f16 v43, v25, v8, v23 op_sel:[0,1,0]
	;; [unrolled: 2-line block ×4, first 2 shown]
	s_add_i32 s4, s18, s4
	s_delay_alu instid0(SALU_CYCLE_1)
	s_cmp_ge_i32 s4, s34
	s_cbranch_scc1 .LBB21_51
; %bb.50:                               ;   in Loop: Header=BB21_17 Depth=1
	v_dual_mov_b32 v24, v0 :: v_dual_mov_b32 v25, v1
	v_dual_mov_b32 v23, v2 :: v_dual_mov_b32 v52, v63
	;; [unrolled: 1-line block ×3, first 2 shown]
	v_mov_b32_e32 v49, v64
	v_mov_b32_e32 v51, v4
	s_branch .LBB21_17
.LBB21_51:
	v_mov_b32_e32 v8, v29
.LBB21_52:
	v_cmp_lt_i32_e32 vcc_lo, v59, v30
	s_cmp_lg_u64 s[24:25], 0
	s_cselect_b32 s2, -1, 0
	s_cmp_eq_u32 s14, 0
	v_cndmask_b32_e32 v5, v8, v59, vcc_lo
	v_cmp_lt_i32_e32 vcc_lo, v58, v30
	s_cselect_b32 s3, -1, 0
	s_delay_alu instid0(SALU_CYCLE_1) | instskip(SKIP_2) | instid1(VALU_DEP_2)
	s_and_b32 s2, s3, s2
	v_cndmask_b32_e32 v10, v8, v58, vcc_lo
	v_cmp_lt_i32_e32 vcc_lo, v57, v30
	v_lshlrev_b32_e32 v10, 2, v10
	v_lshlrev_b32_e32 v5, 2, v5
	ds_bpermute_b32 v6, v5, v63
	s_waitcnt lgkmcnt(0)
	v_add_f32_e32 v6, v63, v6
	ds_bpermute_b32 v7, v5, v64
	ds_bpermute_b32 v9, v5, v65
	;; [unrolled: 1-line block ×3, first 2 shown]
	s_waitcnt lgkmcnt(2)
	v_add_f32_e32 v7, v64, v7
	s_waitcnt lgkmcnt(1)
	v_add_f32_e32 v9, v65, v9
	ds_bpermute_b32 v11, v10, v7
	v_cndmask_b32_e32 v15, v8, v57, vcc_lo
	s_waitcnt lgkmcnt(1)
	v_add_f32_e32 v4, v4, v5
	ds_bpermute_b32 v5, v10, v6
	ds_bpermute_b32 v14, v10, v9
	v_cmp_lt_i32_e32 vcc_lo, v56, v30
	s_waitcnt lgkmcnt(1)
	v_dual_add_f32 v5, v6, v5 :: v_dual_add_f32 v6, v7, v11
	v_lshlrev_b32_e32 v15, 2, v15
	ds_bpermute_b32 v10, v10, v4
	s_waitcnt lgkmcnt(1)
	v_add_f32_e32 v7, v9, v14
	ds_bpermute_b32 v11, v15, v7
	s_waitcnt lgkmcnt(1)
	v_add_f32_e32 v4, v4, v10
	ds_bpermute_b32 v10, v15, v6
	ds_bpermute_b32 v9, v15, v5
	;; [unrolled: 1-line block ×3, first 2 shown]
	s_waitcnt lgkmcnt(2)
	v_dual_add_f32 v6, v6, v10 :: v_dual_cndmask_b32 v15, v8, v56
	v_cmp_lt_i32_e32 vcc_lo, v55, v30
	s_waitcnt lgkmcnt(0)
	s_delay_alu instid0(VALU_DEP_2)
	v_dual_add_f32 v4, v4, v14 :: v_dual_lshlrev_b32 v15, 2, v15
	v_dual_cndmask_b32 v8, v8, v55 :: v_dual_add_f32 v5, v5, v9
	s_and_b32 vcc_lo, exec_lo, s2
	ds_bpermute_b32 v14, v15, v4
	v_lshlrev_b32_e32 v8, 2, v8
	ds_bpermute_b32 v9, v15, v5
	ds_bpermute_b32 v10, v15, v6
	s_waitcnt lgkmcnt(1)
	v_add_f32_e32 v5, v5, v9
	v_add_f32_e32 v9, v4, v14
	s_waitcnt lgkmcnt(0)
	v_add_f32_e32 v6, v6, v10
	ds_bpermute_b32 v4, v8, v5
	v_add_f32_e32 v7, v7, v11
	ds_bpermute_b32 v10, v8, v6
	s_waitcnt lgkmcnt(1)
	v_add_f32_e32 v4, v5, v4
	ds_bpermute_b32 v11, v15, v7
	s_waitcnt lgkmcnt(1)
	v_add_f32_e32 v5, v6, v10
	s_waitcnt lgkmcnt(0)
	v_add_f32_e32 v7, v7, v11
	ds_bpermute_b32 v11, v8, v7
	ds_bpermute_b32 v8, v8, v9
	s_waitcnt lgkmcnt(0)
	v_dual_add_f32 v6, v7, v11 :: v_dual_add_f32 v7, v9, v8
	s_cbranch_vccz .LBB21_55
; %bb.53:
	v_dual_max_f32 v15, v1, v1 :: v_dual_add_nc_u32 v8, s15, v27
	s_delay_alu instid0(VALU_DEP_1) | instskip(NEXT) | instid1(VALU_DEP_1)
	v_ashrrev_i32_e32 v9, 31, v8
	v_lshlrev_b64 v[8:9], 2, v[8:9]
	s_delay_alu instid0(VALU_DEP_1) | instskip(NEXT) | instid1(VALU_DEP_2)
	v_add_co_u32 v8, vcc_lo, s24, v8
	v_add_co_ci_u32_e32 v9, vcc_lo, s25, v9, vcc_lo
	global_load_b128 v[8:11], v[8:9], off
	v_max_f32_e32 v14, v0, v0
	s_waitcnt vmcnt(0)
	v_dual_max_f32 v16, v2, v2 :: v_dual_max_f32 v17, v8, v8
	v_dual_max_f32 v19, v9, v9 :: v_dual_max_f32 v20, v10, v10
	s_delay_alu instid0(VALU_DEP_2) | instskip(NEXT) | instid1(VALU_DEP_2)
	v_dual_max_f32 v21, v11, v11 :: v_dual_max_f32 v14, v14, v17
	v_dual_max_f32 v15, v15, v19 :: v_dual_max_f32 v16, v16, v20
	v_max_f32_e32 v18, v3, v3
	s_delay_alu instid0(VALU_DEP_2) | instskip(SKIP_1) | instid1(VALU_DEP_3)
	v_dual_sub_f32 v8, v8, v14 :: v_dual_sub_f32 v9, v9, v15
	v_sub_f32_e32 v19, v1, v15
	v_dual_max_f32 v17, v18, v21 :: v_dual_sub_f32 v18, v0, v14
	v_sub_f32_e32 v20, v2, v16
	s_delay_alu instid0(VALU_DEP_2)
	v_dual_sub_f32 v10, v10, v16 :: v_dual_sub_f32 v11, v11, v17
	v_dual_sub_f32 v21, v3, v17 :: v_dual_mov_b32 v0, v14
	v_dual_mov_b32 v1, v15 :: v_dual_mov_b32 v2, v16
	v_mov_b32_e32 v3, v17
	v_dual_mul_f32 v15, 0x3fb8aa3b, v8 :: v_dual_mul_f32 v14, 0x3fb8aa3b, v18
	v_dual_mul_f32 v17, 0x3fb8aa3b, v9 :: v_dual_mul_f32 v16, 0x3fb8aa3b, v19
	;; [unrolled: 1-line block ×3, first 2 shown]
	v_mul_f32_e32 v25, 0x3fb8aa3b, v11
	s_delay_alu instid0(VALU_DEP_4)
	v_fma_f32 v26, 0x3fb8aa3b, v18, -v14
	v_rndne_f32_e32 v29, v14
	v_fma_f32 v30, 0x3fb8aa3b, v8, -v15
	v_rndne_f32_e32 v31, v15
	v_rndne_f32_e32 v35, v17
	;; [unrolled: 1-line block ×3, first 2 shown]
	v_fmac_f32_e32 v26, 0x32a5705f, v18
	v_sub_f32_e32 v14, v14, v29
	v_dual_mul_f32 v24, 0x3fb8aa3b, v21 :: v_dual_sub_f32 v15, v15, v31
	v_fma_f32 v32, 0x3fb8aa3b, v19, -v16
	v_fma_f32 v34, 0x3fb8aa3b, v9, -v17
	;; [unrolled: 1-line block ×3, first 2 shown]
	v_rndne_f32_e32 v51, v25
	v_dual_fmac_f32 v30, 0x32a5705f, v8 :: v_dual_sub_f32 v17, v17, v35
	v_dual_sub_f32 v23, v23, v39 :: v_dual_add_f32 v14, v14, v26
	v_rndne_f32_e32 v33, v16
	v_fma_f32 v50, 0x3fb8aa3b, v11, -v25
	v_dual_fmac_f32 v38, 0x32a5705f, v10 :: v_dual_sub_f32 v25, v25, v51
	v_dual_fmac_f32 v32, 0x32a5705f, v19 :: v_dual_add_f32 v15, v15, v30
	v_exp_f32_e32 v14, v14
	v_cvt_i32_f32_e32 v29, v29
	s_delay_alu instid0(VALU_DEP_3) | instskip(SKIP_3) | instid1(VALU_DEP_3)
	v_dual_fmac_f32 v34, 0x32a5705f, v9 :: v_dual_add_f32 v23, v23, v38
	v_sub_f32_e32 v16, v16, v33
	v_exp_f32_e32 v15, v15
	v_fma_f32 v36, 0x3fb8aa3b, v20, -v22
	v_add_f32_e32 v17, v17, v34
	v_rndne_f32_e32 v37, v22
	v_cvt_i32_f32_e32 v31, v31
	v_add_f32_e32 v16, v16, v32
	v_ldexp_f32 v14, v14, v29
	v_cmp_ngt_f32_e32 vcc_lo, 0xc2ce8ed0, v18
	v_fmac_f32_e32 v50, 0x32a5705f, v11
	v_fmac_f32_e32 v36, 0x32a5705f, v20
	v_exp_f32_e32 v16, v16
	v_ldexp_f32 v15, v15, v31
	v_cndmask_b32_e32 v14, 0, v14, vcc_lo
	v_cmp_ngt_f32_e32 vcc_lo, 0xc2ce8ed0, v8
	v_sub_f32_e32 v22, v22, v37
	v_cvt_i32_f32_e32 v33, v33
	v_add_f32_e32 v25, v25, v50
	v_exp_f32_e32 v17, v17
	s_delay_alu instid0(VALU_DEP_3)
	v_dual_cndmask_b32 v15, 0, v15 :: v_dual_add_f32 v22, v22, v36
	v_cvt_i32_f32_e32 v35, v35
	v_ldexp_f32 v16, v16, v33
	v_cmp_ngt_f32_e32 vcc_lo, 0xc2ce8ed0, v19
	v_cvt_i32_f32_e32 v37, v37
	v_exp_f32_e32 v22, v22
	v_exp_f32_e32 v23, v23
	v_fma_f32 v40, 0x3fb8aa3b, v21, -v24
	s_delay_alu instid0(TRANS32_DEP_3)
	v_ldexp_f32 v17, v17, v35
	v_cndmask_b32_e32 v16, 0, v16, vcc_lo
	v_cmp_ngt_f32_e32 vcc_lo, 0xc2ce8ed0, v9
	v_rndne_f32_e32 v49, v24
	v_cvt_i32_f32_e32 v39, v39
	v_exp_f32_e32 v25, v25
	v_cvt_i32_f32_e32 v30, v51
	v_ldexp_f32 v22, v22, v37
	v_cndmask_b32_e32 v17, 0, v17, vcc_lo
	v_cmp_ngt_f32_e32 vcc_lo, 0xc2ce8ed0, v20
	v_sub_f32_e32 v24, v24, v49
	v_ldexp_f32 v23, v23, v39
	v_cvt_i32_f32_e32 v26, v49
	v_cndmask_b32_e32 v22, 0, v22, vcc_lo
	v_cmp_ngt_f32_e32 vcc_lo, 0xc2ce8ed0, v10
	v_fmac_f32_e32 v40, 0x32a5705f, v21
	v_ldexp_f32 v25, v25, v30
	s_delay_alu instid0(VALU_DEP_2) | instskip(SKIP_1) | instid1(VALU_DEP_2)
	v_dual_cndmask_b32 v23, 0, v23 :: v_dual_add_f32 v24, v24, v40
	v_cmp_ngt_f32_e32 vcc_lo, 0xc2ce8ed0, v21
	v_exp_f32_e32 v24, v24
	s_waitcnt_depctr 0xfff
	v_ldexp_f32 v24, v24, v26
	s_delay_alu instid0(VALU_DEP_1)
	v_cndmask_b32_e32 v24, 0, v24, vcc_lo
	v_cmp_ngt_f32_e32 vcc_lo, 0xc2ce8ed0, v11
	v_cndmask_b32_e32 v25, 0, v25, vcc_lo
	v_cmp_nlt_f32_e32 vcc_lo, 0x42b17218, v18
	v_cndmask_b32_e32 v14, 0x7f800000, v14, vcc_lo
	v_cmp_nlt_f32_e32 vcc_lo, 0x42b17218, v8
	;; [unrolled: 2-line block ×3, first 2 shown]
	s_delay_alu instid0(VALU_DEP_2) | instskip(SKIP_4) | instid1(VALU_DEP_3)
	v_dual_fmac_f32 v8, v4, v14 :: v_dual_cndmask_b32 v15, 0x7f800000, v16
	v_cmp_nlt_f32_e32 vcc_lo, 0x42b17218, v9
	v_cvt_f16_f32_e32 v4, v14
	v_cndmask_b32_e32 v9, 0x7f800000, v17, vcc_lo
	v_cmp_nlt_f32_e32 vcc_lo, 0x42b17218, v20
	v_pk_mul_f16 v46, v4, v46 op_sel_hi:[0,1]
	v_pk_mul_f16 v48, v4, v48 op_sel_hi:[0,1]
	s_delay_alu instid0(VALU_DEP_4)
	v_dual_mov_b32 v4, v8 :: v_dual_fmac_f32 v9, v5, v15
	v_cndmask_b32_e32 v16, 0x7f800000, v22, vcc_lo
	v_cmp_nlt_f32_e32 vcc_lo, 0x42b17218, v10
	v_cvt_f16_f32_e32 v5, v15
	v_cndmask_b32_e32 v10, 0x7f800000, v23, vcc_lo
	v_cmp_nlt_f32_e32 vcc_lo, 0x42b17218, v21
	s_delay_alu instid0(VALU_DEP_3) | instskip(SKIP_1) | instid1(VALU_DEP_4)
	v_pk_mul_f16 v44, v5, v44 op_sel_hi:[0,1]
	v_pk_mul_f16 v47, v5, v47 op_sel_hi:[0,1]
	v_dual_mov_b32 v5, v9 :: v_dual_fmac_f32 v10, v6, v16
	v_cndmask_b32_e32 v17, 0x7f800000, v24, vcc_lo
	v_cmp_nlt_f32_e32 vcc_lo, 0x42b17218, v11
	v_cvt_f16_f32_e32 v6, v16
	v_cndmask_b32_e32 v11, 0x7f800000, v25, vcc_lo
	s_delay_alu instid0(VALU_DEP_2) | instskip(SKIP_1) | instid1(VALU_DEP_3)
	v_pk_mul_f16 v42, v6, v42 op_sel_hi:[0,1]
	v_pk_mul_f16 v45, v6, v45 op_sel_hi:[0,1]
	v_dual_mov_b32 v6, v10 :: v_dual_fmac_f32 v11, v7, v17
	v_cvt_f16_f32_e32 v7, v17
	s_delay_alu instid0(VALU_DEP_1) | instskip(SKIP_1) | instid1(VALU_DEP_4)
	v_pk_mul_f16 v43, v7, v43 op_sel_hi:[0,1]
	v_pk_mul_f16 v41, v7, v41 op_sel_hi:[0,1]
	v_mov_b32_e32 v7, v11
	s_mov_b32 s2, exec_lo
	v_cmpx_gt_i32_e64 s6, v12
	s_cbranch_execnz .LBB21_56
.LBB21_54:
	s_nop 0
	s_sendmsg sendmsg(MSG_DEALLOC_VGPRS)
	s_endpgm
.LBB21_55:
	s_delay_alu instid0(VALU_DEP_1)
	v_dual_mov_b32 v11, v7 :: v_dual_mov_b32 v10, v6
	v_dual_mov_b32 v9, v5 :: v_dual_mov_b32 v8, v4
	s_mov_b32 s2, exec_lo
	v_cmpx_gt_i32_e64 s6, v12
	s_cbranch_execz .LBB21_54
.LBB21_56:
	s_load_b32 s1, s[0:1], 0xd4
	v_mov_b32_e32 v16, 1.0
	s_waitcnt lgkmcnt(0)
	s_cmp_lg_u32 s1, 1
	s_cselect_b32 s3, -1, 0
	s_cmp_eq_u32 s1, 1
	s_cselect_b32 s2, -1, 0
	s_and_b32 vcc_lo, exec_lo, s3
	s_cbranch_vccnz .LBB21_58
; %bb.57:
	v_div_scale_f32 v14, null, v4, v4, 1.0
	s_delay_alu instid0(VALU_DEP_1) | instskip(SKIP_2) | instid1(VALU_DEP_1)
	v_rcp_f32_e32 v15, v14
	s_waitcnt_depctr 0xfff
	v_fma_f32 v16, -v14, v15, 1.0
	v_fmac_f32_e32 v15, v16, v15
	v_div_scale_f32 v16, vcc_lo, 1.0, v4, 1.0
	s_delay_alu instid0(VALU_DEP_1) | instskip(NEXT) | instid1(VALU_DEP_1)
	v_mul_f32_e32 v17, v16, v15
	v_fma_f32 v18, -v14, v17, v16
	s_delay_alu instid0(VALU_DEP_1) | instskip(NEXT) | instid1(VALU_DEP_1)
	v_fmac_f32_e32 v17, v18, v15
	v_fma_f32 v14, -v14, v17, v16
	s_delay_alu instid0(VALU_DEP_1) | instskip(NEXT) | instid1(VALU_DEP_1)
	v_div_fmas_f32 v14, v14, v15, v17
	v_div_fixup_f32 v16, v14, v4, 1.0
.LBB21_58:
	v_mad_u64_u32 v[14:15], null, s12, s6, v[12:13]
	v_cmp_eq_u32_e32 vcc_lo, 0, v13
	v_cvt_f32_f16_e32 v18, v48
	v_cvt_f32_f16_e32 v17, v46
	s_delay_alu instid0(VALU_DEP_2) | instskip(SKIP_1) | instid1(VALU_DEP_3)
	v_mul_f32_e32 v19, v16, v18
	v_mul_lo_u32 v4, v14, s7
	v_mul_f32_e32 v17, v16, v17
	s_delay_alu instid0(VALU_DEP_2) | instskip(NEXT) | instid1(VALU_DEP_1)
	v_add3_u32 v4, s15, v27, v4
	v_mad_u64_u32 v[14:15], null, s1, v4, s[14:15]
	v_lshrrev_b32_e32 v4, 16, v46
	v_lshrrev_b32_e32 v15, 16, v48
	s_delay_alu instid0(VALU_DEP_2) | instskip(SKIP_2) | instid1(VALU_DEP_4)
	v_cvt_f32_f16_e32 v4, v4
	v_mov_b32_e32 v13, 0
	v_lshl_add_u32 v12, v14, 7, v28
	v_cvt_f32_f16_e32 v15, v15
	s_delay_alu instid0(VALU_DEP_4) | instskip(NEXT) | instid1(VALU_DEP_3)
	v_mul_f32_e32 v18, v16, v4
	v_lshlrev_b64 v[12:13], 2, v[12:13]
	s_delay_alu instid0(VALU_DEP_3) | instskip(NEXT) | instid1(VALU_DEP_2)
	v_mul_f32_e32 v20, v16, v15
	v_add_co_u32 v12, s0, s28, v12
	s_delay_alu instid0(VALU_DEP_1)
	v_add_co_ci_u32_e64 v13, s0, s29, v13, s0
	s_and_b32 s0, vcc_lo, s3
	global_store_b128 v[12:13], v[17:20], off
	s_and_saveexec_b32 s3, s0
	s_cbranch_execz .LBB21_60
; %bb.59:
	v_ashrrev_i32_e32 v15, 31, v14
	v_mov_b32_e32 v16, v8
	s_delay_alu instid0(VALU_DEP_2) | instskip(SKIP_1) | instid1(VALU_DEP_2)
	v_lshlrev_b64 v[12:13], 3, v[14:15]
	v_mov_b32_e32 v15, v0
	v_add_co_u32 v12, vcc_lo, s30, v12
	s_delay_alu instid0(VALU_DEP_3)
	v_add_co_ci_u32_e32 v13, vcc_lo, s31, v13, vcc_lo
	global_store_b64 v[12:13], v[15:16], off
.LBB21_60:
	s_or_b32 exec_lo, exec_lo, s3
	v_cndmask_b32_e64 v12, 0, 1, s2
	v_mov_b32_e32 v0, 1.0
	s_and_not1_b32 vcc_lo, exec_lo, s2
	s_cbranch_vccnz .LBB21_62
; %bb.61:
	v_div_scale_f32 v0, null, v5, v5, 1.0
	s_delay_alu instid0(VALU_DEP_1) | instskip(SKIP_2) | instid1(VALU_DEP_1)
	v_rcp_f32_e32 v4, v0
	s_waitcnt_depctr 0xfff
	v_fma_f32 v8, -v0, v4, 1.0
	v_fmac_f32_e32 v4, v8, v4
	v_div_scale_f32 v8, vcc_lo, 1.0, v5, 1.0
	s_delay_alu instid0(VALU_DEP_1) | instskip(NEXT) | instid1(VALU_DEP_1)
	v_mul_f32_e32 v13, v8, v4
	v_fma_f32 v15, -v0, v13, v8
	s_delay_alu instid0(VALU_DEP_1) | instskip(NEXT) | instid1(VALU_DEP_1)
	v_fmac_f32_e32 v13, v15, v4
	v_fma_f32 v0, -v0, v13, v8
	s_delay_alu instid0(VALU_DEP_1) | instskip(NEXT) | instid1(VALU_DEP_1)
	v_div_fmas_f32 v0, v0, v4, v13
	v_div_fixup_f32 v0, v0, v5, 1.0
.LBB21_62:
	v_cvt_f32_f16_e32 v15, v44
	v_add_nc_u32_e32 v4, s1, v14
	v_cvt_f32_f16_e32 v16, v47
	v_mov_b32_e32 v14, 0
	v_lshrrev_b32_e32 v5, 16, v44
	v_lshrrev_b32_e32 v8, 16, v47
	v_lshl_add_u32 v13, v4, 7, v28
	s_delay_alu instid0(VALU_DEP_3) | instskip(NEXT) | instid1(VALU_DEP_3)
	v_cvt_f32_f16_e32 v5, v5
	v_cvt_f32_f16_e32 v8, v8
	s_delay_alu instid0(VALU_DEP_3)
	v_lshlrev_b64 v[17:18], 2, v[13:14]
	v_mul_f32_e32 v13, v0, v15
	v_mul_f32_e32 v15, v0, v16
	;; [unrolled: 1-line block ×4, first 2 shown]
	v_add_co_u32 v17, vcc_lo, s28, v17
	v_add_co_ci_u32_e32 v18, vcc_lo, s29, v18, vcc_lo
	global_store_b128 v[17:18], v[13:16], off
	s_and_saveexec_b32 s2, s0
	s_cbranch_execz .LBB21_64
; %bb.63:
	v_ashrrev_i32_e32 v5, 31, v4
	v_mov_b32_e32 v8, v1
	s_delay_alu instid0(VALU_DEP_2) | instskip(NEXT) | instid1(VALU_DEP_1)
	v_lshlrev_b64 v[13:14], 3, v[4:5]
	v_add_co_u32 v13, vcc_lo, s30, v13
	s_delay_alu instid0(VALU_DEP_2)
	v_add_co_ci_u32_e32 v14, vcc_lo, s31, v14, vcc_lo
	global_store_b64 v[13:14], v[8:9], off
.LBB21_64:
	s_or_b32 exec_lo, exec_lo, s2
	v_cmp_ne_u32_e32 vcc_lo, 1, v12
	v_mov_b32_e32 v1, 1.0
	s_cbranch_vccnz .LBB21_66
; %bb.65:
	v_div_scale_f32 v0, null, v6, v6, 1.0
	s_delay_alu instid0(VALU_DEP_1) | instskip(SKIP_2) | instid1(VALU_DEP_1)
	v_rcp_f32_e32 v1, v0
	s_waitcnt_depctr 0xfff
	v_fma_f32 v5, -v0, v1, 1.0
	v_fmac_f32_e32 v1, v5, v1
	v_div_scale_f32 v5, vcc_lo, 1.0, v6, 1.0
	s_delay_alu instid0(VALU_DEP_1) | instskip(NEXT) | instid1(VALU_DEP_1)
	v_mul_f32_e32 v8, v5, v1
	v_fma_f32 v9, -v0, v8, v5
	s_delay_alu instid0(VALU_DEP_1) | instskip(NEXT) | instid1(VALU_DEP_1)
	v_fmac_f32_e32 v8, v9, v1
	v_fma_f32 v0, -v0, v8, v5
	s_delay_alu instid0(VALU_DEP_1) | instskip(NEXT) | instid1(VALU_DEP_1)
	v_div_fmas_f32 v0, v0, v1, v8
	v_div_fixup_f32 v1, v0, v6, 1.0
.LBB21_66:
	v_dual_mov_b32 v5, 0 :: v_dual_add_nc_u32 v0, s1, v4
	v_lshrrev_b32_e32 v6, 16, v42
	v_lshrrev_b32_e32 v8, 16, v45
	v_cvt_f32_f16_e32 v9, v42
	s_delay_alu instid0(VALU_DEP_4)
	v_lshl_add_u32 v4, v0, 7, v28
	v_cvt_f32_f16_e32 v14, v45
	v_cvt_f32_f16_e32 v6, v6
	;; [unrolled: 1-line block ×3, first 2 shown]
	v_mul_f32_e32 v13, v1, v9
	v_lshlrev_b64 v[4:5], 2, v[4:5]
	v_mul_f32_e32 v15, v1, v14
	v_mul_f32_e32 v14, v1, v6
	;; [unrolled: 1-line block ×3, first 2 shown]
	s_delay_alu instid0(VALU_DEP_4)
	v_add_co_u32 v4, vcc_lo, s28, v4
	v_add_co_ci_u32_e32 v5, vcc_lo, s29, v5, vcc_lo
	global_store_b128 v[4:5], v[13:16], off
	s_and_saveexec_b32 s2, s0
	s_cbranch_execz .LBB21_68
; %bb.67:
	v_ashrrev_i32_e32 v1, 31, v0
	v_mov_b32_e32 v9, v2
	s_delay_alu instid0(VALU_DEP_2) | instskip(NEXT) | instid1(VALU_DEP_1)
	v_lshlrev_b64 v[4:5], 3, v[0:1]
	v_add_co_u32 v4, vcc_lo, s30, v4
	s_delay_alu instid0(VALU_DEP_2)
	v_add_co_ci_u32_e32 v5, vcc_lo, s31, v5, vcc_lo
	global_store_b64 v[4:5], v[9:10], off
.LBB21_68:
	s_or_b32 exec_lo, exec_lo, s2
	v_cmp_ne_u32_e32 vcc_lo, 1, v12
	v_mov_b32_e32 v1, 1.0
	s_cbranch_vccnz .LBB21_70
; %bb.69:
	v_div_scale_f32 v1, null, v7, v7, 1.0
	s_delay_alu instid0(VALU_DEP_1) | instskip(SKIP_2) | instid1(VALU_DEP_1)
	v_rcp_f32_e32 v2, v1
	s_waitcnt_depctr 0xfff
	v_fma_f32 v4, -v1, v2, 1.0
	v_fmac_f32_e32 v2, v4, v2
	v_div_scale_f32 v4, vcc_lo, 1.0, v7, 1.0
	s_delay_alu instid0(VALU_DEP_1) | instskip(NEXT) | instid1(VALU_DEP_1)
	v_mul_f32_e32 v5, v4, v2
	v_fma_f32 v6, -v1, v5, v4
	s_delay_alu instid0(VALU_DEP_1) | instskip(NEXT) | instid1(VALU_DEP_1)
	v_fmac_f32_e32 v5, v6, v2
	v_fma_f32 v1, -v1, v5, v4
	s_delay_alu instid0(VALU_DEP_1) | instskip(NEXT) | instid1(VALU_DEP_1)
	v_div_fmas_f32 v1, v1, v2, v5
	v_div_fixup_f32 v1, v1, v7, 1.0
.LBB21_70:
	v_dual_mov_b32 v5, 0 :: v_dual_add_nc_u32 v0, s1, v0
	v_lshrrev_b32_e32 v2, 16, v43
	v_lshrrev_b32_e32 v6, 16, v41
	v_cvt_f32_f16_e32 v7, v43
	s_delay_alu instid0(VALU_DEP_4) | instskip(SKIP_3) | instid1(VALU_DEP_4)
	v_lshl_add_u32 v4, v0, 7, v28
	v_cvt_f32_f16_e32 v10, v41
	v_cvt_f32_f16_e32 v2, v2
	;; [unrolled: 1-line block ×3, first 2 shown]
	v_lshlrev_b64 v[8:9], 2, v[4:5]
	v_mul_f32_e32 v4, v1, v7
	v_mul_f32_e32 v6, v1, v10
	;; [unrolled: 1-line block ×4, first 2 shown]
	v_add_co_u32 v1, vcc_lo, s28, v8
	v_add_co_ci_u32_e32 v2, vcc_lo, s29, v9, vcc_lo
	global_store_b128 v[1:2], v[4:7], off
	s_and_b32 exec_lo, exec_lo, s0
	s_cbranch_execz .LBB21_54
; %bb.71:
	v_ashrrev_i32_e32 v1, 31, v0
	v_mov_b32_e32 v10, v3
	s_delay_alu instid0(VALU_DEP_2) | instskip(NEXT) | instid1(VALU_DEP_1)
	v_lshlrev_b64 v[0:1], 3, v[0:1]
	v_add_co_u32 v0, vcc_lo, s30, v0
	s_delay_alu instid0(VALU_DEP_2)
	v_add_co_ci_u32_e32 v1, vcc_lo, s31, v1, vcc_lo
	global_store_b64 v[0:1], v[10:11], off
	s_nop 0
	s_sendmsg sendmsg(MSG_DEALLOC_VGPRS)
	s_endpgm
	.section	.rodata,"a",@progbits
	.p2align	6, 0x0
	.amdhsa_kernel _ZL15flash_attn_tileILi192ELi128ELi4ELi8ELb1EEvPKcS1_S1_S1_S1_PKiPfP15HIP_vector_typeIfLj2EEffffjfiS5_IjLj3EEiiiiiiiiiiiliiliiiiil
		.amdhsa_group_segment_fixed_size 25600
		.amdhsa_private_segment_fixed_size 0
		.amdhsa_kernarg_size 464
		.amdhsa_user_sgpr_count 13
		.amdhsa_user_sgpr_dispatch_ptr 0
		.amdhsa_user_sgpr_queue_ptr 0
		.amdhsa_user_sgpr_kernarg_segment_ptr 1
		.amdhsa_user_sgpr_dispatch_id 0
		.amdhsa_user_sgpr_private_segment_size 0
		.amdhsa_wavefront_size32 1
		.amdhsa_uses_dynamic_stack 0
		.amdhsa_enable_private_segment 0
		.amdhsa_system_sgpr_workgroup_id_x 1
		.amdhsa_system_sgpr_workgroup_id_y 1
		.amdhsa_system_sgpr_workgroup_id_z 1
		.amdhsa_system_sgpr_workgroup_info 0
		.amdhsa_system_vgpr_workitem_id 1
		.amdhsa_next_free_vgpr 187
		.amdhsa_next_free_sgpr 40
		.amdhsa_reserve_vcc 1
		.amdhsa_float_round_mode_32 0
		.amdhsa_float_round_mode_16_64 0
		.amdhsa_float_denorm_mode_32 3
		.amdhsa_float_denorm_mode_16_64 3
		.amdhsa_dx10_clamp 1
		.amdhsa_ieee_mode 1
		.amdhsa_fp16_overflow 0
		.amdhsa_workgroup_processor_mode 1
		.amdhsa_memory_ordered 1
		.amdhsa_forward_progress 0
		.amdhsa_shared_vgpr_count 0
		.amdhsa_exception_fp_ieee_invalid_op 0
		.amdhsa_exception_fp_denorm_src 0
		.amdhsa_exception_fp_ieee_div_zero 0
		.amdhsa_exception_fp_ieee_overflow 0
		.amdhsa_exception_fp_ieee_underflow 0
		.amdhsa_exception_fp_ieee_inexact 0
		.amdhsa_exception_int_div_zero 0
	.end_amdhsa_kernel
	.section	.text._ZL15flash_attn_tileILi192ELi128ELi4ELi8ELb1EEvPKcS1_S1_S1_S1_PKiPfP15HIP_vector_typeIfLj2EEffffjfiS5_IjLj3EEiiiiiiiiiiiliiliiiiil,"axG",@progbits,_ZL15flash_attn_tileILi192ELi128ELi4ELi8ELb1EEvPKcS1_S1_S1_S1_PKiPfP15HIP_vector_typeIfLj2EEffffjfiS5_IjLj3EEiiiiiiiiiiiliiliiiiil,comdat
.Lfunc_end21:
	.size	_ZL15flash_attn_tileILi192ELi128ELi4ELi8ELb1EEvPKcS1_S1_S1_S1_PKiPfP15HIP_vector_typeIfLj2EEffffjfiS5_IjLj3EEiiiiiiiiiiiliiliiiiil, .Lfunc_end21-_ZL15flash_attn_tileILi192ELi128ELi4ELi8ELb1EEvPKcS1_S1_S1_S1_PKiPfP15HIP_vector_typeIfLj2EEffffjfiS5_IjLj3EEiiiiiiiiiiiliiliiiiil
                                        ; -- End function
	.section	.AMDGPU.csdata,"",@progbits
; Kernel info:
; codeLenInByte = 31424
; NumSgprs: 42
; NumVgprs: 187
; ScratchSize: 0
; MemoryBound: 0
; FloatMode: 240
; IeeeMode: 1
; LDSByteSize: 25600 bytes/workgroup (compile time only)
; SGPRBlocks: 5
; VGPRBlocks: 23
; NumSGPRsForWavesPerEU: 42
; NumVGPRsForWavesPerEU: 187
; Occupancy: 8
; WaveLimiterHint : 1
; COMPUTE_PGM_RSRC2:SCRATCH_EN: 0
; COMPUTE_PGM_RSRC2:USER_SGPR: 13
; COMPUTE_PGM_RSRC2:TRAP_HANDLER: 0
; COMPUTE_PGM_RSRC2:TGID_X_EN: 1
; COMPUTE_PGM_RSRC2:TGID_Y_EN: 1
; COMPUTE_PGM_RSRC2:TGID_Z_EN: 1
; COMPUTE_PGM_RSRC2:TIDIG_COMP_CNT: 1
	.section	.text._ZL15flash_attn_tileILi192ELi128ELi2ELi8ELb1EEvPKcS1_S1_S1_S1_PKiPfP15HIP_vector_typeIfLj2EEffffjfiS5_IjLj3EEiiiiiiiiiiiliiliiiiil,"axG",@progbits,_ZL15flash_attn_tileILi192ELi128ELi2ELi8ELb1EEvPKcS1_S1_S1_S1_PKiPfP15HIP_vector_typeIfLj2EEffffjfiS5_IjLj3EEiiiiiiiiiiiliiliiiiil,comdat
	.globl	_ZL15flash_attn_tileILi192ELi128ELi2ELi8ELb1EEvPKcS1_S1_S1_S1_PKiPfP15HIP_vector_typeIfLj2EEffffjfiS5_IjLj3EEiiiiiiiiiiiliiliiiiil ; -- Begin function _ZL15flash_attn_tileILi192ELi128ELi2ELi8ELb1EEvPKcS1_S1_S1_S1_PKiPfP15HIP_vector_typeIfLj2EEffffjfiS5_IjLj3EEiiiiiiiiiiiliiliiiiil
	.p2align	8
	.type	_ZL15flash_attn_tileILi192ELi128ELi2ELi8ELb1EEvPKcS1_S1_S1_S1_PKiPfP15HIP_vector_typeIfLj2EEffffjfiS5_IjLj3EEiiiiiiiiiiiliiliiiiil,@function
_ZL15flash_attn_tileILi192ELi128ELi2ELi8ELb1EEvPKcS1_S1_S1_S1_PKiPfP15HIP_vector_typeIfLj2EEffffjfiS5_IjLj3EEiiiiiiiiiiiliiliiiiil: ; @_ZL15flash_attn_tileILi192ELi128ELi2ELi8ELb1EEvPKcS1_S1_S1_S1_PKiPfP15HIP_vector_typeIfLj2EEffffjfiS5_IjLj3EEiiiiiiiiiiiliiliiiiil
; %bb.0:
	s_clause 0x1
	s_load_b128 s[4:7], s[0:1], 0x5c
	s_load_b64 s[34:35], s[0:1], 0x80
	s_mov_b64 s[36:37], 0
	s_waitcnt lgkmcnt(0)
	s_ashr_i32 s2, s7, 31
	s_delay_alu instid0(SALU_CYCLE_1) | instskip(NEXT) | instid1(SALU_CYCLE_1)
	s_lshr_b32 s2, s2, 29
	s_add_i32 s2, s7, s2
	s_delay_alu instid0(SALU_CYCLE_1) | instskip(NEXT) | instid1(SALU_CYCLE_1)
	s_ashr_i32 s2, s2, 3
	v_cvt_f32_u32_e32 v1, s2
	s_sub_i32 s8, 0, s2
	s_delay_alu instid0(VALU_DEP_1) | instskip(SKIP_2) | instid1(VALU_DEP_1)
	v_rcp_iflag_f32_e32 v1, v1
	s_waitcnt_depctr 0xfff
	v_mul_f32_e32 v1, 0x4f7ffffe, v1
	v_cvt_u32_f32_e32 v1, v1
	s_delay_alu instid0(VALU_DEP_1) | instskip(NEXT) | instid1(VALU_DEP_1)
	v_readfirstlane_b32 s3, v1
	s_mul_i32 s8, s8, s3
	s_delay_alu instid0(SALU_CYCLE_1) | instskip(NEXT) | instid1(SALU_CYCLE_1)
	s_mul_hi_u32 s8, s3, s8
	s_add_i32 s3, s3, s8
	s_delay_alu instid0(SALU_CYCLE_1) | instskip(NEXT) | instid1(SALU_CYCLE_1)
	s_mul_hi_u32 s3, s15, s3
	s_mul_i32 s8, s3, s2
	s_add_i32 s9, s3, 1
	s_sub_i32 s8, s15, s8
	s_delay_alu instid0(SALU_CYCLE_1)
	s_sub_i32 s10, s8, s2
	s_cmp_ge_u32 s8, s2
	s_cselect_b32 s3, s9, s3
	s_cselect_b32 s8, s10, s8
	s_add_i32 s9, s3, 1
	s_cmp_ge_u32 s8, s2
	s_cselect_b32 s12, s9, s3
	s_abs_i32 s2, s35
	s_abs_i32 s11, s7
	v_cvt_f32_u32_e32 v1, s2
	s_sub_i32 s8, 0, s2
	s_lshl_b32 s9, s15, 3
	s_mul_i32 s10, s12, s7
	s_delay_alu instid0(VALU_DEP_1) | instskip(SKIP_3) | instid1(VALU_DEP_1)
	v_rcp_iflag_f32_e32 v1, v1
	s_sub_i32 s15, s9, s10
	s_waitcnt_depctr 0xfff
	v_mul_f32_e32 v1, 0x4f7ffffe, v1
	v_cvt_u32_f32_e32 v1, v1
	s_delay_alu instid0(VALU_DEP_1) | instskip(NEXT) | instid1(VALU_DEP_1)
	v_readfirstlane_b32 s3, v1
	s_mul_i32 s8, s8, s3
	s_delay_alu instid0(SALU_CYCLE_1) | instskip(NEXT) | instid1(SALU_CYCLE_1)
	s_mul_hi_u32 s8, s3, s8
	s_add_i32 s3, s3, s8
	s_xor_b32 s8, s7, s35
	s_mul_hi_u32 s3, s11, s3
	s_ashr_i32 s8, s8, 31
	s_mul_i32 s9, s3, s2
	s_add_i32 s10, s3, 1
	s_sub_i32 s9, s11, s9
	s_delay_alu instid0(SALU_CYCLE_1)
	s_sub_i32 s11, s9, s2
	s_cmp_ge_u32 s9, s2
	s_cselect_b32 s3, s10, s3
	s_cselect_b32 s9, s11, s9
	s_add_i32 s10, s3, 1
	s_cmp_ge_u32 s9, s2
	s_cselect_b32 s2, s10, s3
	s_delay_alu instid0(SALU_CYCLE_1) | instskip(NEXT) | instid1(SALU_CYCLE_1)
	s_xor_b32 s2, s2, s8
	s_sub_i32 s35, s2, s8
	s_clause 0x1
	s_load_b512 s[16:31], s[0:1], 0x0
	s_load_b64 s[2:3], s[0:1], 0xb8
	s_abs_i32 s33, s35
	s_delay_alu instid0(SALU_CYCLE_1) | instskip(NEXT) | instid1(VALU_DEP_1)
	v_cvt_f32_u32_e32 v1, s33
	v_rcp_iflag_f32_e32 v1, v1
	s_waitcnt_depctr 0xfff
	v_mul_f32_e32 v1, 0x4f7ffffe, v1
	s_waitcnt lgkmcnt(0)
	s_cmp_eq_u64 s[22:23], 0
	s_delay_alu instid0(VALU_DEP_1) | instskip(NEXT) | instid1(VALU_DEP_1)
	v_cvt_u32_f32_e32 v1, v1
	v_readfirstlane_b32 s38, v1
	s_cbranch_scc1 .LBB22_2
; %bb.1:
	s_abs_i32 s2, s2
	s_abs_i32 s10, s12
	v_cvt_f32_u32_e32 v1, s2
	s_sub_i32 s9, 0, s2
	s_delay_alu instid0(VALU_DEP_1) | instskip(SKIP_2) | instid1(VALU_DEP_1)
	v_rcp_iflag_f32_e32 v1, v1
	s_waitcnt_depctr 0xfff
	v_mul_f32_e32 v1, 0x4f7ffffe, v1
	v_cvt_u32_f32_e32 v1, v1
	s_delay_alu instid0(VALU_DEP_1) | instskip(NEXT) | instid1(VALU_DEP_1)
	v_readfirstlane_b32 s8, v1
	s_mul_i32 s9, s9, s8
	s_delay_alu instid0(SALU_CYCLE_1) | instskip(NEXT) | instid1(SALU_CYCLE_1)
	s_mul_hi_u32 s9, s8, s9
	s_add_i32 s11, s8, s9
	s_load_b64 s[8:9], s[0:1], 0xc8
	s_mul_hi_u32 s11, s10, s11
	s_delay_alu instid0(SALU_CYCLE_1) | instskip(NEXT) | instid1(SALU_CYCLE_1)
	s_mul_i32 s11, s11, s2
	s_sub_i32 s10, s10, s11
	s_ashr_i32 s11, s12, 31
	s_sub_i32 s36, s10, s2
	s_cmp_ge_u32 s10, s2
	s_cselect_b32 s10, s36, s10
	s_delay_alu instid0(SALU_CYCLE_1) | instskip(SKIP_2) | instid1(SALU_CYCLE_1)
	s_sub_i32 s36, s10, s2
	s_cmp_ge_u32 s10, s2
	s_cselect_b32 s2, s36, s10
	s_xor_b32 s2, s2, s11
	s_delay_alu instid0(SALU_CYCLE_1)
	s_sub_i32 s2, s2, s11
	s_waitcnt lgkmcnt(0)
	s_mul_i32 s9, s2, s9
	s_mul_hi_u32 s10, s2, s8
	s_ashr_i32 s11, s2, 31
	s_add_i32 s9, s10, s9
	s_mul_i32 s11, s11, s8
	s_mul_i32 s2, s2, s8
	s_add_i32 s9, s9, s11
	s_add_u32 s36, s22, s2
	s_addc_u32 s37, s23, s9
.LBB22_2:
	v_bfe_u32 v19, v0, 10, 10
	s_load_b128 s[8:11], s[0:1], 0x70
	v_and_b32_e32 v0, 0x3ff, v0
	s_delay_alu instid0(VALU_DEP_2) | instskip(SKIP_1) | instid1(VALU_DEP_3)
	v_lshrrev_b32_e32 v1, 2, v19
	v_lshlrev_b32_e32 v8, 1, v19
	v_lshlrev_b32_e32 v24, 1, v0
	s_delay_alu instid0(VALU_DEP_3) | instskip(NEXT) | instid1(VALU_DEP_3)
	v_lshl_add_u32 v1, s13, 1, v1
	v_and_b32_e32 v9, 6, v8
	s_delay_alu instid0(VALU_DEP_2) | instskip(SKIP_3) | instid1(VALU_DEP_1)
	v_mul_hi_u32 v2, s4, v1
	s_waitcnt lgkmcnt(0)
	s_mul_i32 s2, s12, s10
	s_mul_i32 s4, s15, s9
	v_add_nc_u32_e32 v2, v1, v2
	s_delay_alu instid0(VALU_DEP_1)
	v_lshrrev_b32_e32 v2, s5, v2
	s_ashr_i32 s5, s2, 31
	s_add_u32 s2, s16, s2
	s_addc_u32 s5, s17, s5
	s_ashr_i32 s10, s4, 31
	v_mul_lo_u32 v2, v2, s6
	s_add_u32 s2, s2, s4
	s_addc_u32 s4, s5, s10
	s_ashr_i32 s10, s8, 31
	s_ashr_i32 s5, s9, 31
	v_alignbit_b32 v4, s10, s8, 2
	v_alignbit_b32 v6, s5, s9, 2
	s_lshr_b32 s8, s10, 2
	v_sub_nc_u32_e32 v20, v1, v2
	s_delay_alu instid0(VALU_DEP_1) | instskip(NEXT) | instid1(VALU_DEP_3)
	v_mad_u64_u32 v[2:3], null, v4, v20, 0
	v_mad_u64_u32 v[4:5], null, v6, v9, 0
	s_delay_alu instid0(VALU_DEP_1) | instskip(SKIP_1) | instid1(VALU_DEP_1)
	v_mad_u64_u32 v[6:7], null, s8, v20, v[3:4]
	s_lshr_b32 s8, s5, 2
	v_mov_b32_e32 v3, v6
	s_delay_alu instid0(VALU_DEP_3) | instskip(SKIP_2) | instid1(VALU_DEP_3)
	v_mad_u64_u32 v[6:7], null, s8, v9, v[5:6]
	v_lshlrev_b32_e32 v7, 4, v0
	s_load_b32 s8, s[0:1], 0x40
	v_lshlrev_b64 v[2:3], 2, v[2:3]
	s_delay_alu instid0(VALU_DEP_3) | instskip(NEXT) | instid1(VALU_DEP_2)
	v_mov_b32_e32 v5, v6
	v_add_co_u32 v6, vcc_lo, s2, v2
	s_delay_alu instid0(VALU_DEP_3) | instskip(NEXT) | instid1(VALU_DEP_3)
	v_add_co_ci_u32_e32 v10, vcc_lo, s4, v3, vcc_lo
	v_lshlrev_b64 v[2:3], 2, v[4:5]
	s_delay_alu instid0(VALU_DEP_3) | instskip(NEXT) | instid1(VALU_DEP_3)
	v_add_co_u32 v4, vcc_lo, v6, v7
	v_add_co_ci_u32_e32 v5, vcc_lo, 0, v10, vcc_lo
	v_mul_u32_u24_e32 v6, 0xc0, v19
	s_delay_alu instid0(VALU_DEP_3) | instskip(NEXT) | instid1(VALU_DEP_3)
	v_add_co_u32 v2, vcc_lo, v4, v2
	v_add_co_ci_u32_e32 v3, vcc_lo, v5, v3, vcc_lo
	s_delay_alu instid0(VALU_DEP_3)
	v_add_lshl_u32 v6, v6, v24, 2
	v_cmp_gt_u32_e32 vcc_lo, 16, v0
	s_mov_b32 s4, s9
	global_load_b128 v[10:13], v[2:3], off
	s_lshr_b64 s[4:5], s[4:5], 2
	s_waitcnt vmcnt(0) lgkmcnt(0)
	v_fma_mixlo_f16 v15, v12, s8, 0
	v_fma_mixlo_f16 v14, v10, s8, 0
	s_delay_alu instid0(VALU_DEP_2) | instskip(NEXT) | instid1(VALU_DEP_2)
	v_fma_mixhi_f16 v15, v13, s8, 0
	v_fma_mixhi_f16 v14, v11, s8, 0
	ds_store_b64 v6, v[14:15]
	s_and_saveexec_b32 s2, vcc_lo
	s_cbranch_execz .LBB22_4
; %bb.3:
	global_load_b128 v[10:13], v[2:3], off offset:512
	s_waitcnt vmcnt(0)
	v_fma_mixlo_f16 v3, v12, s8, 0
	v_fma_mixlo_f16 v2, v10, s8, 0
	s_delay_alu instid0(VALU_DEP_2) | instskip(NEXT) | instid1(VALU_DEP_2)
	v_fma_mixhi_f16 v3, v13, s8, 0
	v_fma_mixhi_f16 v2, v11, s8, 0
	ds_store_b64 v6, v[2:3] offset:256
.LBB22_4:
	s_or_b32 exec_lo, exec_lo, s2
	v_or_b32_e32 v10, 1, v8
	s_delay_alu instid0(VALU_DEP_1) | instskip(SKIP_1) | instid1(VALU_DEP_2)
	v_and_b32_e32 v11, 7, v10
	v_mul_u32_u24_e32 v12, 0x60, v10
	v_mad_u64_u32 v[2:3], null, s4, v11, 0
	s_delay_alu instid0(VALU_DEP_1) | instskip(NEXT) | instid1(VALU_DEP_1)
	v_mad_u64_u32 v[6:7], null, s5, v11, v[3:4]
	v_mov_b32_e32 v3, v6
	s_delay_alu instid0(VALU_DEP_1) | instskip(NEXT) | instid1(VALU_DEP_1)
	v_lshlrev_b64 v[2:3], 2, v[2:3]
	v_add_co_u32 v2, s2, v4, v2
	s_delay_alu instid0(VALU_DEP_1)
	v_add_co_ci_u32_e64 v3, s2, v5, v3, s2
	global_load_b128 v[4:7], v[2:3], off
	s_waitcnt vmcnt(0)
	v_fma_mixlo_f16 v11, v6, s8, 0
	v_fma_mixlo_f16 v10, v4, s8, 0
	v_add_lshl_u32 v4, v12, v24, 2
	s_delay_alu instid0(VALU_DEP_3) | instskip(NEXT) | instid1(VALU_DEP_3)
	v_fma_mixhi_f16 v11, v7, s8, 0
	v_fma_mixhi_f16 v10, v5, s8, 0
	ds_store_b64 v4, v[10:11]
	s_and_saveexec_b32 s2, vcc_lo
	s_cbranch_execz .LBB22_6
; %bb.5:
	global_load_b128 v[10:13], v[2:3], off offset:512
	s_waitcnt vmcnt(0)
	v_fma_mixlo_f16 v3, v12, s8, 0
	v_fma_mixlo_f16 v2, v10, s8, 0
	s_delay_alu instid0(VALU_DEP_2) | instskip(NEXT) | instid1(VALU_DEP_2)
	v_fma_mixhi_f16 v3, v13, s8, 0
	v_fma_mixhi_f16 v2, v11, s8, 0
	ds_store_b64 v4, v[2:3] offset:256
.LBB22_6:
	s_or_b32 exec_lo, exec_lo, s2
	s_cmp_eq_u64 s[26:27], 0
	s_waitcnt lgkmcnt(0)
	s_barrier
	buffer_gl0_inv
	s_cbranch_scc1 .LBB22_8
; %bb.7:
	s_load_b32 s2, s[0:1], 0xd0
	s_mov_b32 s5, 0
	s_waitcnt lgkmcnt(0)
	s_mul_i32 s2, s2, s12
	s_delay_alu instid0(SALU_CYCLE_1) | instskip(NEXT) | instid1(SALU_CYCLE_1)
	s_add_i32 s4, s2, s13
	s_lshl_b64 s[4:5], s[4:5], 2
	s_delay_alu instid0(SALU_CYCLE_1)
	s_add_u32 s4, s26, s4
	s_addc_u32 s5, s27, s5
	s_load_b32 s34, s[4:5], 0x0
.LBB22_8:
	v_mbcnt_lo_u32_b32 v5, -1, 0
	s_lshl_b32 s4, s14, 5
	s_waitcnt lgkmcnt(0)
	s_cmp_lt_i32 s4, s34
	s_cbranch_scc1 .LBB22_10
; %bb.9:
	v_mbcnt_lo_u32_b32 v2, -1, 0
	v_mov_b32_e32 v6, 32
	s_mov_b32 s2, 0
	s_mov_b32 s5, 0xfeffffff
	s_delay_alu instid0(VALU_DEP_2)
	v_xor_b32_e32 v33, 16, v2
	v_xor_b32_e32 v29, 8, v2
	;; [unrolled: 1-line block ×5, first 2 shown]
	s_branch .LBB22_11
.LBB22_10:
	s_mov_b32 s2, -1
                                        ; implicit-def: $sgpr5
                                        ; implicit-def: $vgpr2
                                        ; implicit-def: $vgpr6
                                        ; implicit-def: $vgpr33
                                        ; implicit-def: $vgpr29
                                        ; implicit-def: $vgpr30
                                        ; implicit-def: $vgpr31
                                        ; implicit-def: $vgpr32
.LBB22_11:
	s_delay_alu instid0(SALU_CYCLE_1) | instskip(SKIP_3) | instid1(VALU_DEP_4)
	v_cndmask_b32_e64 v3, 0, 1, s2
	v_dual_mov_b32 v4, s5 :: v_dual_mov_b32 v13, s2
	v_mov_b32_e32 v28, s2
	v_dual_mov_b32 v7, s2 :: v_dual_lshlrev_b32 v10, 2, v0
	v_cmp_ne_u32_e32 vcc_lo, 1, v3
	v_dual_mov_b32 v3, s5 :: v_dual_mov_b32 v14, s2
	v_dual_mov_b32 v11, s2 :: v_dual_mov_b32 v12, s2
	s_cbranch_vccnz .LBB22_24
; %bb.12:
	s_clause 0x1
	s_load_b128 s[8:11], s[0:1], 0x98
	s_load_b64 s[16:17], s[0:1], 0x8c
	s_sub_i32 s2, 0, s33
	v_lshrrev_b32_e32 v2, 3, v0
	s_mul_i32 s2, s2, s38
	s_abs_i32 s13, s15
	s_mul_hi_u32 s2, s38, s2
	s_ashr_i32 s23, s35, 31
	s_add_i32 s38, s38, s2
	s_ashr_i32 s35, s12, 31
	s_mul_hi_u32 s27, s13, s38
	v_lshl_add_u32 v4, v19, 2, v2
	s_ashr_i32 s22, s15, 31
	s_ashr_i32 s26, s3, 1
	s_mul_i32 s38, s27, s33
	s_load_b64 s[2:3], s[0:1], 0xa8
	v_lshrrev_b32_e32 v6, 4, v0
	v_dual_mov_b32 v12, 0 :: v_dual_and_b32 v7, 28, v10
	v_mov_b32_e32 v26, 0xfeffffff
	s_waitcnt lgkmcnt(0)
	s_ashr_i32 s5, s10, 2
	s_ashr_i32 s10, s16, 2
	s_mul_i32 s9, s12, s9
	s_mul_hi_u32 s16, s12, s8
	s_mul_i32 s39, s35, s8
	s_add_i32 s9, s16, s9
	s_mul_i32 s8, s12, s8
	s_add_i32 s9, s9, s39
	s_add_u32 s16, s18, s8
	s_addc_u32 s9, s19, s9
	s_sub_i32 s8, s13, s38
	s_xor_b32 s18, s22, s23
	s_add_i32 s13, s27, 1
	s_sub_i32 s19, s8, s33
	v_mul_lo_u32 v2, s10, v4
	s_cmp_ge_u32 s8, s33
	v_add_nc_u32_e32 v11, v8, v6
	s_cselect_b32 s13, s13, s27
	s_cselect_b32 s8, s19, s8
	s_add_i32 s19, s13, 1
	s_cmp_ge_u32 s8, s33
	v_mul_lo_u32 v6, s5, v11
	s_cselect_b32 s13, s19, s13
	v_ashrrev_i32_e32 v3, 31, v2
	s_xor_b32 s13, s13, s18
	v_mul_u32_u24_e32 v4, 0x90, v4
	s_sub_i32 s13, s13, s18
	v_lshlrev_b32_e32 v7, 2, v7
	v_lshlrev_b64 v[2:3], 2, v[2:3]
	s_mul_i32 s17, s13, s17
	s_load_b32 s8, s[0:1], 0x54
	s_ashr_i32 s19, s17, 31
	s_add_u32 s16, s16, s17
	s_addc_u32 s9, s9, s19
	v_add_co_u32 v2, vcc_lo, s16, v2
	v_add_co_ci_u32_e32 v3, vcc_lo, s9, v3, vcc_lo
	v_add3_u32 v8, v4, v7, 0x1800
	s_delay_alu instid0(VALU_DEP_3)
	v_add_co_u32 v15, vcc_lo, v2, v7
	v_ashrrev_i32_e32 v7, 31, v6
	s_mul_i32 s3, s12, s3
	s_mul_hi_u32 s18, s12, s2
	v_and_b32_e32 v2, 60, v10
	s_mul_i32 s35, s35, s2
	s_add_i32 s3, s18, s3
	s_mul_i32 s2, s12, s2
	v_lshlrev_b64 v[6:7], 2, v[6:7]
	s_add_i32 s3, s3, s35
	s_mul_i32 s13, s13, s11
	s_add_u32 s2, s20, s2
	s_addc_u32 s3, s21, s3
	s_ashr_i32 s11, s13, 31
	v_lshlrev_b32_e32 v4, 2, v2
	s_add_u32 s2, s2, s13
	v_add_co_ci_u32_e32 v16, vcc_lo, 0, v3, vcc_lo
	s_addc_u32 s3, s3, s11
	v_add_co_u32 v6, vcc_lo, s2, v6
	v_mad_u64_u32 v[2:3], null, v20, s26, v[0:1]
	v_mul_u32_u24_e32 v18, 0x300, v19
	v_lshl_add_u32 v19, v19, 7, 0x2a00
	v_lshl_or_b32 v3, v11, 8, v4
	v_mov_b32_e32 v11, 0
	v_add_co_ci_u32_e32 v7, vcc_lo, s3, v7, vcc_lo
	s_movk_i32 s11, 0x1800
	v_add_co_u32 v22, vcc_lo, v6, v4
	v_mad_u32_u24 v17, 0x90, v0, s11
	v_lshl_add_u32 v20, v24, 1, v19
	v_dual_mov_b32 v14, 0 :: v_dual_add_nc_u32 v21, 0x1800, v3
	v_add_co_ci_u32_e32 v23, vcc_lo, 0, v7, vcc_lo
	v_lshl_add_u32 v24, v24, 2, 0x1800
	v_dual_mov_b32 v7, 0 :: v_dual_mov_b32 v6, 32
	v_mov_b32_e32 v13, 0
	v_mov_b32_e32 v27, 0xfeffffff
	;; [unrolled: 1-line block ×3, first 2 shown]
	s_add_u32 s2, s0, 0xd0
	s_addc_u32 s3, s1, 0
	s_mov_b32 s9, 0xbbbac73d
.LBB22_13:                              ; =>This Inner Loop Header: Depth=1
	s_mul_hi_i32 s17, s4, s10
	s_mul_i32 s16, s4, s10
	s_delay_alu instid0(SALU_CYCLE_1) | instskip(NEXT) | instid1(SALU_CYCLE_1)
	s_lshl_b64 s[16:17], s[16:17], 2
	v_add_co_u32 v3, vcc_lo, v15, s16
	v_add_co_ci_u32_e32 v4, vcc_lo, s17, v16, vcc_lo
	global_load_b128 v[28:31], v[3:4], off
	s_waitcnt vmcnt(0)
	ds_store_b128 v8, v[28:31]
	s_waitcnt lgkmcnt(0)
	s_barrier
	buffer_gl0_inv
	ds_load_b128 v[30:33], v17
	ds_load_b128 v[34:37], v18
	ds_load_b128 v[38:41], v18 offset:384
	v_dual_mov_b32 v29, 0 :: v_dual_mov_b32 v28, 0
	s_waitcnt lgkmcnt(1)
	;;#ASMSTART
	v_dot2_f32_f16 v29, v30, v34, v29
	;;#ASMEND
	;;#ASMSTART
	v_dot2_f32_f16 v29, v31, v35, v29
	;;#ASMEND
	;;#ASMSTART
	v_dot2_f32_f16 v29, v32, v36, v29
	;;#ASMEND
	;;#ASMSTART
	v_dot2_f32_f16 v29, v33, v37, v29
	;;#ASMEND
	s_waitcnt lgkmcnt(0)
	;;#ASMSTART
	v_dot2_f32_f16 v28, v30, v38, v28
	;;#ASMEND
	;;#ASMSTART
	v_dot2_f32_f16 v28, v31, v39, v28
	;;#ASMEND
	;;#ASMSTART
	v_dot2_f32_f16 v28, v32, v40, v28
	;;#ASMEND
	;;#ASMSTART
	v_dot2_f32_f16 v28, v33, v41, v28
	;;#ASMEND
	ds_load_b128 v[30:33], v17 offset:16
	ds_load_b128 v[34:37], v18 offset:16
	ds_load_b128 v[38:41], v18 offset:400
	s_waitcnt lgkmcnt(1)
	;;#ASMSTART
	v_dot2_f32_f16 v29, v30, v34, v29
	;;#ASMEND
	;;#ASMSTART
	v_dot2_f32_f16 v29, v31, v35, v29
	;;#ASMEND
	;;#ASMSTART
	v_dot2_f32_f16 v29, v32, v36, v29
	;;#ASMEND
	;;#ASMSTART
	v_dot2_f32_f16 v29, v33, v37, v29
	;;#ASMEND
	s_waitcnt lgkmcnt(0)
	;;#ASMSTART
	v_dot2_f32_f16 v28, v30, v38, v28
	;;#ASMEND
	;;#ASMSTART
	v_dot2_f32_f16 v28, v31, v39, v28
	;;#ASMEND
	;;#ASMSTART
	v_dot2_f32_f16 v28, v32, v40, v28
	;;#ASMEND
	;;#ASMSTART
	v_dot2_f32_f16 v28, v33, v41, v28
	;;#ASMEND
	ds_load_b128 v[30:33], v17 offset:32
	ds_load_b128 v[34:37], v18 offset:32
	ds_load_b128 v[38:41], v18 offset:416
	s_waitcnt lgkmcnt(1)
	;;#ASMSTART
	v_dot2_f32_f16 v29, v30, v34, v29
	;;#ASMEND
	;;#ASMSTART
	v_dot2_f32_f16 v29, v31, v35, v29
	;;#ASMEND
	;;#ASMSTART
	v_dot2_f32_f16 v29, v32, v36, v29
	;;#ASMEND
	;;#ASMSTART
	v_dot2_f32_f16 v29, v33, v37, v29
	;;#ASMEND
	s_waitcnt lgkmcnt(0)
	;;#ASMSTART
	v_dot2_f32_f16 v28, v30, v38, v28
	;;#ASMEND
	;;#ASMSTART
	v_dot2_f32_f16 v28, v31, v39, v28
	;;#ASMEND
	;;#ASMSTART
	v_dot2_f32_f16 v28, v32, v40, v28
	;;#ASMEND
	;;#ASMSTART
	v_dot2_f32_f16 v28, v33, v41, v28
	;;#ASMEND
	ds_load_b128 v[30:33], v17 offset:48
	ds_load_b128 v[34:37], v18 offset:48
	ds_load_b128 v[38:41], v18 offset:432
	s_waitcnt lgkmcnt(1)
	;;#ASMSTART
	v_dot2_f32_f16 v29, v30, v34, v29
	;;#ASMEND
	;;#ASMSTART
	v_dot2_f32_f16 v29, v31, v35, v29
	;;#ASMEND
	;;#ASMSTART
	v_dot2_f32_f16 v29, v32, v36, v29
	;;#ASMEND
	;;#ASMSTART
	v_dot2_f32_f16 v29, v33, v37, v29
	;;#ASMEND
	s_waitcnt lgkmcnt(0)
	;;#ASMSTART
	v_dot2_f32_f16 v28, v30, v38, v28
	;;#ASMEND
	;;#ASMSTART
	v_dot2_f32_f16 v28, v31, v39, v28
	;;#ASMEND
	;;#ASMSTART
	v_dot2_f32_f16 v28, v32, v40, v28
	;;#ASMEND
	;;#ASMSTART
	v_dot2_f32_f16 v28, v33, v41, v28
	;;#ASMEND
	ds_load_b128 v[30:33], v17 offset:64
	ds_load_b128 v[34:37], v18 offset:64
	ds_load_b128 v[38:41], v18 offset:448
	s_waitcnt lgkmcnt(1)
	;;#ASMSTART
	v_dot2_f32_f16 v29, v30, v34, v29
	;;#ASMEND
	;;#ASMSTART
	v_dot2_f32_f16 v29, v31, v35, v29
	;;#ASMEND
	;;#ASMSTART
	v_dot2_f32_f16 v29, v32, v36, v29
	;;#ASMEND
	;;#ASMSTART
	v_dot2_f32_f16 v29, v33, v37, v29
	;;#ASMEND
	s_waitcnt lgkmcnt(0)
	;;#ASMSTART
	v_dot2_f32_f16 v28, v30, v38, v28
	;;#ASMEND
	;;#ASMSTART
	v_dot2_f32_f16 v28, v31, v39, v28
	;;#ASMEND
	;;#ASMSTART
	v_dot2_f32_f16 v28, v32, v40, v28
	;;#ASMEND
	;;#ASMSTART
	v_dot2_f32_f16 v28, v33, v41, v28
	;;#ASMEND
	ds_load_b128 v[30:33], v17 offset:80
	ds_load_b128 v[34:37], v18 offset:80
	ds_load_b128 v[38:41], v18 offset:464
	s_waitcnt lgkmcnt(1)
	;;#ASMSTART
	v_dot2_f32_f16 v29, v30, v34, v29
	;;#ASMEND
	;;#ASMSTART
	v_dot2_f32_f16 v29, v31, v35, v29
	;;#ASMEND
	;;#ASMSTART
	v_dot2_f32_f16 v29, v32, v36, v29
	;;#ASMEND
	;;#ASMSTART
	v_dot2_f32_f16 v29, v33, v37, v29
	;;#ASMEND
	s_waitcnt lgkmcnt(0)
	;;#ASMSTART
	v_dot2_f32_f16 v28, v30, v38, v28
	;;#ASMEND
	;;#ASMSTART
	v_dot2_f32_f16 v28, v31, v39, v28
	;;#ASMEND
	;;#ASMSTART
	v_dot2_f32_f16 v28, v32, v40, v28
	;;#ASMEND
	;;#ASMSTART
	v_dot2_f32_f16 v28, v33, v41, v28
	;;#ASMEND
	ds_load_b128 v[30:33], v17 offset:96
	ds_load_b128 v[34:37], v18 offset:96
	ds_load_b128 v[38:41], v18 offset:480
	s_waitcnt lgkmcnt(1)
	;;#ASMSTART
	v_dot2_f32_f16 v29, v30, v34, v29
	;;#ASMEND
	;;#ASMSTART
	v_dot2_f32_f16 v29, v31, v35, v29
	;;#ASMEND
	;;#ASMSTART
	v_dot2_f32_f16 v29, v32, v36, v29
	;;#ASMEND
	;;#ASMSTART
	v_dot2_f32_f16 v29, v33, v37, v29
	;;#ASMEND
	s_waitcnt lgkmcnt(0)
	;;#ASMSTART
	v_dot2_f32_f16 v28, v30, v38, v28
	;;#ASMEND
	;;#ASMSTART
	v_dot2_f32_f16 v28, v31, v39, v28
	;;#ASMEND
	;;#ASMSTART
	v_dot2_f32_f16 v28, v32, v40, v28
	;;#ASMEND
	;;#ASMSTART
	v_dot2_f32_f16 v28, v33, v41, v28
	;;#ASMEND
	ds_load_b128 v[30:33], v17 offset:112
	ds_load_b128 v[34:37], v18 offset:112
	ds_load_b128 v[38:41], v18 offset:496
	s_waitcnt lgkmcnt(1)
	;;#ASMSTART
	v_dot2_f32_f16 v29, v30, v34, v29
	;;#ASMEND
	;;#ASMSTART
	v_dot2_f32_f16 v29, v31, v35, v29
	;;#ASMEND
	;; [unrolled: 3-line block ×4, first 2 shown]
	s_waitcnt lgkmcnt(0)
	;;#ASMSTART
	v_dot2_f32_f16 v28, v30, v38, v28
	;;#ASMEND
	;;#ASMSTART
	v_dot2_f32_f16 v28, v31, v39, v28
	;;#ASMEND
	;;#ASMSTART
	v_dot2_f32_f16 v28, v32, v40, v28
	;;#ASMEND
	;;#ASMSTART
	v_dot2_f32_f16 v28, v33, v41, v28
	;;#ASMEND
	s_barrier
	buffer_gl0_inv
	global_load_b128 v[30:33], v[3:4], off offset:128
	s_waitcnt vmcnt(0)
	ds_store_b128 v8, v[30:33]
	s_waitcnt lgkmcnt(0)
	s_barrier
	buffer_gl0_inv
	ds_load_b128 v[30:33], v17
	ds_load_b128 v[34:37], v18 offset:128
	ds_load_b128 v[38:41], v18 offset:512
	s_waitcnt lgkmcnt(1)
	;;#ASMSTART
	v_dot2_f32_f16 v29, v30, v34, v29
	;;#ASMEND
	;;#ASMSTART
	v_dot2_f32_f16 v29, v31, v35, v29
	;;#ASMEND
	;;#ASMSTART
	v_dot2_f32_f16 v29, v32, v36, v29
	;;#ASMEND
	;;#ASMSTART
	v_dot2_f32_f16 v29, v33, v37, v29
	;;#ASMEND
	s_waitcnt lgkmcnt(0)
	;;#ASMSTART
	v_dot2_f32_f16 v28, v30, v38, v28
	;;#ASMEND
	;;#ASMSTART
	v_dot2_f32_f16 v28, v31, v39, v28
	;;#ASMEND
	;;#ASMSTART
	v_dot2_f32_f16 v28, v32, v40, v28
	;;#ASMEND
	;;#ASMSTART
	v_dot2_f32_f16 v28, v33, v41, v28
	;;#ASMEND
	ds_load_b128 v[30:33], v17 offset:16
	ds_load_b128 v[34:37], v18 offset:144
	ds_load_b128 v[38:41], v18 offset:528
	s_waitcnt lgkmcnt(1)
	;;#ASMSTART
	v_dot2_f32_f16 v29, v30, v34, v29
	;;#ASMEND
	;;#ASMSTART
	v_dot2_f32_f16 v29, v31, v35, v29
	;;#ASMEND
	;;#ASMSTART
	v_dot2_f32_f16 v29, v32, v36, v29
	;;#ASMEND
	;;#ASMSTART
	v_dot2_f32_f16 v29, v33, v37, v29
	;;#ASMEND
	s_waitcnt lgkmcnt(0)
	;;#ASMSTART
	v_dot2_f32_f16 v28, v30, v38, v28
	;;#ASMEND
	;;#ASMSTART
	v_dot2_f32_f16 v28, v31, v39, v28
	;;#ASMEND
	;;#ASMSTART
	v_dot2_f32_f16 v28, v32, v40, v28
	;;#ASMEND
	;;#ASMSTART
	v_dot2_f32_f16 v28, v33, v41, v28
	;;#ASMEND
	ds_load_b128 v[30:33], v17 offset:32
	;; [unrolled: 29-line block ×7, first 2 shown]
	ds_load_b128 v[34:37], v18 offset:240
	ds_load_b128 v[38:41], v18 offset:624
	s_waitcnt lgkmcnt(1)
	;;#ASMSTART
	v_dot2_f32_f16 v29, v30, v34, v29
	;;#ASMEND
	;;#ASMSTART
	v_dot2_f32_f16 v29, v31, v35, v29
	;;#ASMEND
	;; [unrolled: 3-line block ×4, first 2 shown]
	s_waitcnt lgkmcnt(0)
	;;#ASMSTART
	v_dot2_f32_f16 v28, v30, v38, v28
	;;#ASMEND
	;;#ASMSTART
	v_dot2_f32_f16 v28, v31, v39, v28
	;;#ASMEND
	;;#ASMSTART
	v_dot2_f32_f16 v28, v32, v40, v28
	;;#ASMEND
	;;#ASMSTART
	v_dot2_f32_f16 v28, v33, v41, v28
	;;#ASMEND
	s_barrier
	buffer_gl0_inv
	global_load_b128 v[30:33], v[3:4], off offset:256
	v_add_nc_u32_e32 v3, s4, v2
	s_delay_alu instid0(VALU_DEP_1) | instskip(NEXT) | instid1(VALU_DEP_1)
	v_ashrrev_i32_e32 v4, 31, v3
	v_lshlrev_b64 v[3:4], 1, v[3:4]
	s_delay_alu instid0(VALU_DEP_1) | instskip(NEXT) | instid1(VALU_DEP_2)
	v_add_co_u32 v3, vcc_lo, s36, v3
	v_add_co_ci_u32_e32 v4, vcc_lo, s37, v4, vcc_lo
	s_waitcnt vmcnt(0)
	ds_store_b128 v8, v[30:33]
	s_waitcnt lgkmcnt(0)
	s_barrier
	buffer_gl0_inv
	ds_load_b128 v[30:33], v17
	ds_load_b128 v[34:37], v18 offset:256
	ds_load_b128 v[38:41], v18 offset:640
	s_waitcnt lgkmcnt(1)
	;;#ASMSTART
	v_dot2_f32_f16 v29, v30, v34, v29
	;;#ASMEND
	;;#ASMSTART
	v_dot2_f32_f16 v29, v31, v35, v29
	;;#ASMEND
	;;#ASMSTART
	v_dot2_f32_f16 v29, v32, v36, v29
	;;#ASMEND
	;;#ASMSTART
	v_dot2_f32_f16 v29, v33, v37, v29
	;;#ASMEND
	s_waitcnt lgkmcnt(0)
	;;#ASMSTART
	v_dot2_f32_f16 v28, v30, v38, v28
	;;#ASMEND
	;;#ASMSTART
	v_dot2_f32_f16 v28, v31, v39, v28
	;;#ASMEND
	;;#ASMSTART
	v_dot2_f32_f16 v28, v32, v40, v28
	;;#ASMEND
	;;#ASMSTART
	v_dot2_f32_f16 v28, v33, v41, v28
	;;#ASMEND
	ds_load_b128 v[30:33], v17 offset:16
	ds_load_b128 v[34:37], v18 offset:272
	ds_load_b128 v[38:41], v18 offset:656
	s_waitcnt lgkmcnt(1)
	;;#ASMSTART
	v_dot2_f32_f16 v29, v30, v34, v29
	;;#ASMEND
	;;#ASMSTART
	v_dot2_f32_f16 v29, v31, v35, v29
	;;#ASMEND
	;;#ASMSTART
	v_dot2_f32_f16 v29, v32, v36, v29
	;;#ASMEND
	;;#ASMSTART
	v_dot2_f32_f16 v29, v33, v37, v29
	;;#ASMEND
	s_waitcnt lgkmcnt(0)
	;;#ASMSTART
	v_dot2_f32_f16 v28, v30, v38, v28
	;;#ASMEND
	;;#ASMSTART
	v_dot2_f32_f16 v28, v31, v39, v28
	;;#ASMEND
	;;#ASMSTART
	v_dot2_f32_f16 v28, v32, v40, v28
	;;#ASMEND
	;;#ASMSTART
	v_dot2_f32_f16 v28, v33, v41, v28
	;;#ASMEND
	ds_load_b128 v[30:33], v17 offset:32
	;; [unrolled: 29-line block ×7, first 2 shown]
	ds_load_b128 v[34:37], v18 offset:368
	ds_load_b128 v[38:41], v18 offset:752
	s_waitcnt lgkmcnt(1)
	;;#ASMSTART
	v_dot2_f32_f16 v29, v30, v34, v29
	;;#ASMEND
	;;#ASMSTART
	v_dot2_f32_f16 v29, v31, v35, v29
	;;#ASMEND
	;; [unrolled: 3-line block ×4, first 2 shown]
	s_waitcnt lgkmcnt(0)
	;;#ASMSTART
	v_dot2_f32_f16 v28, v30, v38, v28
	;;#ASMEND
	;;#ASMSTART
	v_dot2_f32_f16 v28, v31, v39, v28
	;;#ASMEND
	;; [unrolled: 3-line block ×4, first 2 shown]
	flat_load_u16 v3, v[3:4]
	v_cmp_ngt_f32_e64 s11, 0x3f200000, |v29|
                                        ; implicit-def: $vgpr4
	s_delay_alu instid0(VALU_DEP_1) | instskip(NEXT) | instid1(SALU_CYCLE_1)
	s_and_saveexec_b32 s13, s11
	s_xor_b32 s11, exec_lo, s13
	s_cbranch_execz .LBB22_15
; %bb.14:                               ;   in Loop: Header=BB22_13 Depth=1
	v_add_f32_e64 v4, |v29|, |v29|
	s_delay_alu instid0(VALU_DEP_1) | instskip(SKIP_1) | instid1(VALU_DEP_2)
	v_mul_f32_e32 v30, 0x3fb8aa3b, v4
	v_cmp_ngt_f32_e32 vcc_lo, 0xc2ce8ed0, v4
	v_rndne_f32_e32 v31, v30
	v_fma_f32 v32, 0x3fb8aa3b, v4, -v30
	s_delay_alu instid0(VALU_DEP_2) | instskip(NEXT) | instid1(VALU_DEP_2)
	v_sub_f32_e32 v30, v30, v31
	v_fmac_f32_e32 v32, 0x32a5705f, v4
	v_cvt_i32_f32_e32 v31, v31
	s_delay_alu instid0(VALU_DEP_2) | instskip(NEXT) | instid1(VALU_DEP_1)
	v_add_f32_e32 v30, v30, v32
	v_exp_f32_e32 v30, v30
	s_waitcnt_depctr 0xfff
	v_ldexp_f32 v30, v30, v31
	s_delay_alu instid0(VALU_DEP_1) | instskip(SKIP_1) | instid1(VALU_DEP_2)
	v_cndmask_b32_e32 v30, 0, v30, vcc_lo
	v_cmp_nlt_f32_e32 vcc_lo, 0x42b17218, v4
	v_cndmask_b32_e32 v4, 0x7f800000, v30, vcc_lo
	s_delay_alu instid0(VALU_DEP_1) | instskip(NEXT) | instid1(VALU_DEP_1)
	v_add_f32_e32 v4, 1.0, v4
	v_rcp_f32_e32 v4, v4
	s_waitcnt_depctr 0xfff
	v_fma_f32 v4, v4, -2.0, 1.0
.LBB22_15:                              ;   in Loop: Header=BB22_13 Depth=1
	s_and_not1_saveexec_b32 s11, s11
; %bb.16:                               ;   in Loop: Header=BB22_13 Depth=1
	v_mul_f32_e32 v4, v29, v29
	s_delay_alu instid0(VALU_DEP_1) | instskip(NEXT) | instid1(VALU_DEP_1)
	v_fmaak_f32 v30, s9, v4, 0x3ca908c9
	v_fmaak_f32 v30, v4, v30, 0xbd5c1c4e
	s_delay_alu instid0(VALU_DEP_1) | instskip(NEXT) | instid1(VALU_DEP_1)
	v_fmaak_f32 v30, v4, v30, 0x3e088382
	v_fmaak_f32 v30, v4, v30, 0xbeaaaa99
	s_delay_alu instid0(VALU_DEP_1) | instskip(NEXT) | instid1(VALU_DEP_1)
	v_mul_f32_e64 v30, |v29|, v30
	v_fma_f32 v4, v4, v30, |v29|
; %bb.17:                               ;   in Loop: Header=BB22_13 Depth=1
	s_or_b32 exec_lo, exec_lo, s11
	s_delay_alu instid0(VALU_DEP_1)
	v_bfi_b32 v4, 0x7fffffff, v4, v29
	v_xor_b32_e32 v33, 16, v5
	v_max_f32_e32 v30, v26, v26
	v_cmp_ngt_f32_e64 s11, 0x3f200000, |v28|
	s_waitcnt vmcnt(0) lgkmcnt(0)
	v_fma_mix_f32 v34, v4, s8, v3 op_sel_hi:[0,0,1]
	v_cmp_gt_i32_e32 vcc_lo, 32, v33
	s_delay_alu instid0(VALU_DEP_2) | instskip(NEXT) | instid1(VALU_DEP_1)
	v_dual_add_f32 v29, 0x40051340, v34 :: v_dual_cndmask_b32 v4, v5, v33
	v_max_f32_e32 v30, v30, v29
	v_xor_b32_e32 v29, 8, v5
	s_delay_alu instid0(VALU_DEP_1) | instskip(SKIP_1) | instid1(VALU_DEP_1)
	v_cmp_gt_i32_e32 vcc_lo, 32, v29
	v_cndmask_b32_e32 v32, v5, v29, vcc_lo
	v_lshlrev_b32_e32 v35, 2, v32
	v_lshlrev_b32_e32 v4, 2, v4
	ds_bpermute_b32 v31, v4, v30
	s_waitcnt lgkmcnt(0)
	v_max_f32_e32 v31, v31, v31
	s_delay_alu instid0(VALU_DEP_1) | instskip(SKIP_4) | instid1(VALU_DEP_1)
	v_max_f32_e32 v31, v30, v31
	v_xor_b32_e32 v30, 4, v5
	ds_bpermute_b32 v32, v35, v31
	v_cmp_gt_i32_e32 vcc_lo, 32, v30
	v_cndmask_b32_e32 v36, v5, v30, vcc_lo
	v_lshlrev_b32_e32 v36, 2, v36
	s_waitcnt lgkmcnt(0)
	v_max_f32_e32 v32, v32, v32
	s_delay_alu instid0(VALU_DEP_1)
	v_max_f32_e32 v32, v31, v32
	v_xor_b32_e32 v31, 2, v5
	ds_bpermute_b32 v37, v36, v32
	v_cmp_gt_i32_e32 vcc_lo, 32, v31
	v_cndmask_b32_e32 v38, v5, v31, vcc_lo
	s_waitcnt lgkmcnt(0)
	v_max_f32_e32 v39, v37, v37
	s_delay_alu instid0(VALU_DEP_1)
	v_dual_max_f32 v38, v32, v39 :: v_dual_lshlrev_b32 v37, 2, v38
	v_xor_b32_e32 v32, 1, v5
	ds_bpermute_b32 v39, v37, v38
	v_cmp_gt_i32_e32 vcc_lo, 32, v32
	s_waitcnt lgkmcnt(0)
	v_dual_cndmask_b32 v40, v5, v32 :: v_dual_max_f32 v41, v39, v39
	s_delay_alu instid0(VALU_DEP_1) | instskip(SKIP_2) | instid1(SALU_CYCLE_1)
	v_dual_max_f32 v38, v38, v41 :: v_dual_lshlrev_b32 v39, 2, v40
                                        ; implicit-def: $vgpr41
	ds_bpermute_b32 v40, v39, v38
	s_and_saveexec_b32 s13, s11
	s_xor_b32 s11, exec_lo, s13
	s_cbranch_execz .LBB22_19
; %bb.18:                               ;   in Loop: Header=BB22_13 Depth=1
	v_add_f32_e64 v41, |v28|, |v28|
	s_delay_alu instid0(VALU_DEP_1) | instskip(SKIP_1) | instid1(VALU_DEP_2)
	v_mul_f32_e32 v42, 0x3fb8aa3b, v41
	v_cmp_ngt_f32_e32 vcc_lo, 0xc2ce8ed0, v41
	v_rndne_f32_e32 v43, v42
	v_fma_f32 v44, 0x3fb8aa3b, v41, -v42
	s_delay_alu instid0(VALU_DEP_2) | instskip(NEXT) | instid1(VALU_DEP_2)
	v_sub_f32_e32 v42, v42, v43
	v_fmac_f32_e32 v44, 0x32a5705f, v41
	v_cvt_i32_f32_e32 v43, v43
	s_delay_alu instid0(VALU_DEP_2) | instskip(NEXT) | instid1(VALU_DEP_1)
	v_add_f32_e32 v42, v42, v44
	v_exp_f32_e32 v42, v42
	s_waitcnt_depctr 0xfff
	v_ldexp_f32 v42, v42, v43
	s_delay_alu instid0(VALU_DEP_1) | instskip(SKIP_1) | instid1(VALU_DEP_2)
	v_cndmask_b32_e32 v42, 0, v42, vcc_lo
	v_cmp_nlt_f32_e32 vcc_lo, 0x42b17218, v41
	v_cndmask_b32_e32 v41, 0x7f800000, v42, vcc_lo
	s_delay_alu instid0(VALU_DEP_1) | instskip(NEXT) | instid1(VALU_DEP_1)
	v_add_f32_e32 v41, 1.0, v41
	v_rcp_f32_e32 v41, v41
	s_waitcnt_depctr 0xfff
	v_fma_f32 v41, v41, -2.0, 1.0
.LBB22_19:                              ;   in Loop: Header=BB22_13 Depth=1
	s_and_not1_saveexec_b32 s11, s11
; %bb.20:                               ;   in Loop: Header=BB22_13 Depth=1
	v_mul_f32_e32 v41, v28, v28
	s_delay_alu instid0(VALU_DEP_1) | instskip(NEXT) | instid1(VALU_DEP_1)
	v_fmaak_f32 v42, s9, v41, 0x3ca908c9
	v_fmaak_f32 v42, v41, v42, 0xbd5c1c4e
	s_delay_alu instid0(VALU_DEP_1) | instskip(NEXT) | instid1(VALU_DEP_1)
	v_fmaak_f32 v42, v41, v42, 0x3e088382
	v_fmaak_f32 v42, v41, v42, 0xbeaaaa99
	s_delay_alu instid0(VALU_DEP_1) | instskip(NEXT) | instid1(VALU_DEP_1)
	v_mul_f32_e64 v42, |v28|, v42
	v_fma_f32 v41, v41, v42, |v28|
; %bb.21:                               ;   in Loop: Header=BB22_13 Depth=1
	s_or_b32 exec_lo, exec_lo, s11
	s_mul_hi_i32 s17, s4, s5
	s_mul_i32 s16, s4, s5
	s_waitcnt lgkmcnt(0)
	s_lshl_b64 s[16:17], s[16:17], 2
	s_barrier
	v_add_co_u32 v42, vcc_lo, v22, s16
	v_add_co_ci_u32_e32 v43, vcc_lo, s17, v23, vcc_lo
	buffer_gl0_inv
	v_cvt_f32_f16_e32 v46, v3
	v_bfi_b32 v3, 0x7fffffff, v41, v28
	global_load_b128 v[42:45], v[42:43], off
	s_or_b32 s11, s4, 16
	v_add_nc_u32_e32 v87, 0x800, v24
	s_mul_hi_i32 s17, s11, s5
	v_fmac_f32_e32 v46, s8, v3
	v_max_f32_e32 v3, v27, v27
	s_mul_i32 s16, s11, s5
	s_delay_alu instid0(SALU_CYCLE_1) | instskip(NEXT) | instid1(VALU_DEP_2)
	s_lshl_b64 s[16:17], s[16:17], 2
	v_add_f32_e32 v28, 0x40051340, v46
	s_delay_alu instid0(VALU_DEP_1) | instskip(SKIP_4) | instid1(VALU_DEP_1)
	v_max_f32_e32 v3, v3, v28
	v_max_f32_e32 v28, v40, v40
	ds_bpermute_b32 v4, v4, v3
	s_waitcnt lgkmcnt(0)
	v_max_f32_e32 v4, v4, v4
	v_max_f32_e32 v3, v3, v4
	ds_bpermute_b32 v4, v35, v3
	s_waitcnt lgkmcnt(0)
	v_dual_max_f32 v35, v38, v38 :: v_dual_max_f32 v4, v4, v4
	s_delay_alu instid0(VALU_DEP_1) | instskip(SKIP_3) | instid1(VALU_DEP_1)
	v_max_f32_e32 v3, v3, v4
	ds_bpermute_b32 v4, v36, v3
	s_waitcnt lgkmcnt(0)
	v_max_f32_e32 v4, v4, v4
	v_max_f32_e32 v3, v3, v4
	ds_bpermute_b32 v4, v37, v3
	s_waitcnt lgkmcnt(0)
	v_max_f32_e32 v4, v4, v4
	s_delay_alu instid0(VALU_DEP_1) | instskip(SKIP_4) | instid1(VALU_DEP_1)
	v_max_f32_e32 v4, v3, v4
	ds_bpermute_b32 v3, v39, v4
	s_waitcnt lgkmcnt(0)
	v_max_f32_e32 v36, v3, v3
	v_max_f32_e32 v3, v35, v28
	v_sub_f32_e32 v28, v34, v3
	s_delay_alu instid0(VALU_DEP_1) | instskip(SKIP_1) | instid1(VALU_DEP_2)
	v_mul_f32_e32 v35, 0x3fb8aa3b, v28
	v_cmp_ngt_f32_e32 vcc_lo, 0xc2ce8ed0, v28
	v_fma_f32 v37, 0x3fb8aa3b, v28, -v35
	v_rndne_f32_e32 v38, v35
	s_delay_alu instid0(VALU_DEP_2) | instskip(NEXT) | instid1(VALU_DEP_2)
	v_fmac_f32_e32 v37, 0x32a5705f, v28
	v_sub_f32_e32 v35, v35, v38
	s_delay_alu instid0(VALU_DEP_1) | instskip(SKIP_1) | instid1(VALU_DEP_2)
	v_add_f32_e32 v35, v35, v37
	v_cvt_i32_f32_e32 v37, v38
	v_exp_f32_e32 v35, v35
	s_waitcnt_depctr 0xfff
	v_ldexp_f32 v35, v35, v37
	s_delay_alu instid0(VALU_DEP_1) | instskip(NEXT) | instid1(VALU_DEP_1)
	v_dual_cndmask_b32 v35, 0, v35 :: v_dual_max_f32 v4, v4, v36
	v_sub_f32_e32 v27, v27, v4
	s_delay_alu instid0(VALU_DEP_1) | instskip(SKIP_1) | instid1(VALU_DEP_2)
	v_mul_f32_e32 v88, 0x3fb8aa3b, v27
	v_sub_f32_e32 v26, v26, v3
	v_fma_f32 v90, 0x3fb8aa3b, v27, -v88
	s_delay_alu instid0(VALU_DEP_2) | instskip(SKIP_1) | instid1(VALU_DEP_2)
	v_mul_f32_e32 v89, 0x3fb8aa3b, v26
	v_rndne_f32_e32 v91, v88
	v_fma_f32 v92, 0x3fb8aa3b, v26, -v89
	s_delay_alu instid0(VALU_DEP_2) | instskip(SKIP_1) | instid1(VALU_DEP_1)
	v_sub_f32_e32 v88, v88, v91
	v_rndne_f32_e32 v93, v89
	v_dual_fmac_f32 v92, 0x32a5705f, v26 :: v_dual_sub_f32 v89, v89, v93
	s_delay_alu instid0(VALU_DEP_1) | instskip(NEXT) | instid1(VALU_DEP_1)
	v_dual_fmac_f32 v90, 0x32a5705f, v27 :: v_dual_add_f32 v89, v89, v92
	v_add_f32_e32 v88, v88, v90
	v_cvt_i32_f32_e32 v90, v91
	v_cvt_i32_f32_e32 v91, v93
	s_delay_alu instid0(VALU_DEP_4) | instskip(NEXT) | instid1(VALU_DEP_3)
	v_exp_f32_e32 v89, v89
	v_exp_f32_e32 v88, v88
	s_waitcnt_depctr 0xfff
	v_ldexp_f32 v89, v89, v91
	v_sub_f32_e32 v34, v46, v4
	v_ldexp_f32 v88, v88, v90
	s_delay_alu instid0(VALU_DEP_2) | instskip(SKIP_1) | instid1(VALU_DEP_2)
	v_mul_f32_e32 v36, 0x3fb8aa3b, v34
	v_cmp_ngt_f32_e32 vcc_lo, 0xc2ce8ed0, v34
	v_fma_f32 v39, 0x3fb8aa3b, v34, -v36
	v_rndne_f32_e32 v40, v36
	s_delay_alu instid0(VALU_DEP_1) | instskip(SKIP_1) | instid1(VALU_DEP_2)
	v_dual_fmac_f32 v39, 0x32a5705f, v34 :: v_dual_sub_f32 v36, v36, v40
	v_cvt_i32_f32_e32 v38, v40
	v_add_f32_e32 v36, v36, v39
	s_delay_alu instid0(VALU_DEP_1) | instskip(SKIP_2) | instid1(VALU_DEP_1)
	v_exp_f32_e32 v36, v36
	s_waitcnt_depctr 0xfff
	v_ldexp_f32 v36, v36, v38
	v_cndmask_b32_e32 v36, 0, v36, vcc_lo
	v_cmp_nlt_f32_e32 vcc_lo, 0x42b17218, v28
	v_cndmask_b32_e32 v86, 0x7f800000, v35, vcc_lo
	v_cmp_nlt_f32_e32 vcc_lo, 0x42b17218, v34
	s_delay_alu instid0(VALU_DEP_2) | instskip(SKIP_3) | instid1(VALU_DEP_3)
	v_cvt_f16_f32_e32 v34, v86
	v_cndmask_b32_e32 v28, 0x7f800000, v36, vcc_lo
	v_add_co_u32 v82, vcc_lo, v22, s16
	v_add_co_ci_u32_e32 v83, vcc_lo, s17, v23, vcc_lo
	v_cvt_f16_f32_e32 v35, v28
	v_cmp_ngt_f32_e32 vcc_lo, 0xc2ce8ed0, v27
	s_delay_alu instid0(VALU_DEP_2)
	v_pack_b32_f16 v34, v34, v35
	ds_store_b32 v20, v34
	s_waitcnt vmcnt(0)
	ds_store_b128 v21, v[42:45]
	s_waitcnt lgkmcnt(0)
	s_barrier
	buffer_gl0_inv
	ds_load_2addr_b64 v[34:37], v24 offset1:32
	ds_load_b128 v[38:41], v19
	ds_load_b128 v[42:45], v19 offset:16
	ds_load_b128 v[46:49], v19 offset:32
	;; [unrolled: 1-line block ×3, first 2 shown]
	ds_load_2addr_b64 v[54:57], v24 offset0:64 offset1:96
	ds_load_2addr_b64 v[58:61], v24 offset0:128 offset1:160
	;; [unrolled: 1-line block ×3, first 2 shown]
	ds_load_2addr_b64 v[66:69], v87 offset1:32
	ds_load_2addr_b64 v[70:73], v87 offset0:64 offset1:96
	ds_load_2addr_b64 v[74:77], v87 offset0:128 offset1:160
	;; [unrolled: 1-line block ×3, first 2 shown]
	s_waitcnt lgkmcnt(0)
	s_barrier
	buffer_gl0_inv
	global_load_b128 v[82:85], v[82:83], off
	v_cndmask_b32_e32 v88, 0, v88, vcc_lo
	v_cmp_ngt_f32_e32 vcc_lo, 0xc2ce8ed0, v26
	v_pk_mul_f16 v90, v34, v38 op_sel_hi:[1,0]
	v_cndmask_b32_e32 v89, 0, v89, vcc_lo
	v_cmp_nlt_f32_e32 vcc_lo, 0x42b17218, v27
	v_pk_mul_f16 v34, v34, v38 op_sel:[0,1]
	v_pk_mul_f16 v91, v35, v38 op_sel_hi:[1,0]
	v_cndmask_b32_e32 v27, 0x7f800000, v88, vcc_lo
	v_cmp_nlt_f32_e32 vcc_lo, 0x42b17218, v26
	s_delay_alu instid0(VALU_DEP_2) | instskip(SKIP_2) | instid1(VALU_DEP_3)
	v_cvt_f16_f32_e32 v88, v27
	v_cndmask_b32_e32 v26, 0x7f800000, v89, vcc_lo
	v_fmac_f32_e32 v28, v25, v27
	v_pk_mul_f16 v12, v88, v12 op_sel_hi:[0,1]
	s_delay_alu instid0(VALU_DEP_3) | instskip(SKIP_2) | instid1(VALU_DEP_4)
	v_cvt_f16_f32_e32 v89, v26
	v_pk_fma_f16 v11, v11, v88, v34 op_sel_hi:[1,0,1]
	v_fma_f32 v7, v7, v26, v86
	v_pk_fma_f16 v12, v35, v38, v12 op_sel:[0,1,0]
	s_delay_alu instid0(VALU_DEP_4) | instskip(SKIP_2) | instid1(VALU_DEP_4)
	v_pk_fma_f16 v13, v89, v13, v90 op_sel_hi:[0,1,1]
	v_pk_fma_f16 v14, v89, v14, v91 op_sel_hi:[0,1,1]
	v_pk_fma_f16 v11, v36, v39, v11 op_sel:[0,1,0]
	v_pk_fma_f16 v12, v37, v39, v12 op_sel:[0,1,0]
	s_delay_alu instid0(VALU_DEP_4) | instskip(NEXT) | instid1(VALU_DEP_4)
	v_pk_fma_f16 v13, v36, v39, v13 op_sel_hi:[1,0,1]
	v_pk_fma_f16 v14, v37, v39, v14 op_sel_hi:[1,0,1]
	s_delay_alu instid0(VALU_DEP_4) | instskip(NEXT) | instid1(VALU_DEP_4)
	v_pk_fma_f16 v11, v54, v40, v11 op_sel:[0,1,0]
	v_pk_fma_f16 v12, v55, v40, v12 op_sel:[0,1,0]
	s_delay_alu instid0(VALU_DEP_4) | instskip(NEXT) | instid1(VALU_DEP_4)
	v_pk_fma_f16 v13, v54, v40, v13 op_sel_hi:[1,0,1]
	v_pk_fma_f16 v14, v55, v40, v14 op_sel_hi:[1,0,1]
	s_delay_alu instid0(VALU_DEP_4) | instskip(NEXT) | instid1(VALU_DEP_4)
	;; [unrolled: 6-line block ×14, first 2 shown]
	v_pk_fma_f16 v52, v80, v53, v42 op_sel:[0,1,0]
	v_pk_fma_f16 v50, v81, v53, v44 op_sel:[0,1,0]
	s_delay_alu instid0(VALU_DEP_4) | instskip(NEXT) | instid1(VALU_DEP_4)
	v_pk_fma_f16 v51, v80, v53, v45 op_sel_hi:[1,0,1]
	v_pk_fma_f16 v53, v81, v53, v43 op_sel_hi:[1,0,1]
	s_waitcnt vmcnt(0)
	ds_store_b128 v21, v[82:85]
	s_waitcnt lgkmcnt(0)
	s_barrier
	buffer_gl0_inv
	ds_load_2addr_b64 v[11:14], v24 offset1:32
	ds_load_b128 v[34:37], v19 offset:64
	ds_load_2addr_b64 v[38:41], v24 offset0:64 offset1:96
	ds_load_b128 v[42:45], v19 offset:80
	ds_load_2addr_b64 v[46:49], v24 offset0:128 offset1:160
	s_waitcnt lgkmcnt(3)
	v_pk_fma_f16 v51, v11, v34, v51 op_sel_hi:[1,0,1]
	v_pk_fma_f16 v11, v11, v34, v52 op_sel:[0,1,0]
	v_pk_fma_f16 v52, v12, v34, v53 op_sel_hi:[1,0,1]
	v_pk_fma_f16 v12, v12, v34, v50 op_sel:[0,1,0]
	s_delay_alu instid0(VALU_DEP_4) | instskip(NEXT) | instid1(VALU_DEP_4)
	v_pk_fma_f16 v34, v13, v35, v51 op_sel_hi:[1,0,1]
	v_pk_fma_f16 v50, v13, v35, v11 op_sel:[0,1,0]
	s_delay_alu instid0(VALU_DEP_4) | instskip(NEXT) | instid1(VALU_DEP_4)
	v_pk_fma_f16 v51, v14, v35, v52 op_sel_hi:[1,0,1]
	v_pk_fma_f16 v35, v14, v35, v12 op_sel:[0,1,0]
	ds_load_2addr_b64 v[11:14], v24 offset0:192 offset1:224
	s_waitcnt lgkmcnt(3)
	v_pk_fma_f16 v34, v38, v36, v34 op_sel_hi:[1,0,1]
	v_pk_fma_f16 v38, v38, v36, v50 op_sel:[0,1,0]
	v_pk_fma_f16 v58, v39, v36, v51 op_sel_hi:[1,0,1]
	v_pk_fma_f16 v35, v39, v36, v35 op_sel:[0,1,0]
	ds_load_b128 v[50:53], v19 offset:96
	ds_load_b128 v[54:57], v19 offset:112
	v_pk_fma_f16 v39, v40, v37, v34 op_sel_hi:[1,0,1]
	v_pk_fma_f16 v38, v40, v37, v38 op_sel:[0,1,0]
	v_pk_fma_f16 v40, v41, v37, v58 op_sel_hi:[1,0,1]
	v_pk_fma_f16 v41, v41, v37, v35 op_sel:[0,1,0]
	ds_load_2addr_b64 v[34:37], v87 offset1:32
	s_waitcnt lgkmcnt(4)
	v_pk_fma_f16 v58, v46, v42, v39 op_sel_hi:[1,0,1]
	v_pk_fma_f16 v46, v46, v42, v38 op_sel:[0,1,0]
	v_pk_fma_f16 v59, v47, v42, v40 op_sel_hi:[1,0,1]
	v_pk_fma_f16 v42, v47, v42, v41 op_sel:[0,1,0]
	ds_load_2addr_b64 v[38:41], v87 offset0:64 offset1:96
	v_pk_fma_f16 v58, v48, v43, v58 op_sel_hi:[1,0,1]
	v_pk_fma_f16 v60, v48, v43, v46 op_sel:[0,1,0]
	v_pk_fma_f16 v59, v49, v43, v59 op_sel_hi:[1,0,1]
	v_pk_fma_f16 v42, v49, v43, v42 op_sel:[0,1,0]
	ds_load_2addr_b64 v[46:49], v87 offset0:128 offset1:160
	s_waitcnt lgkmcnt(5)
	v_pk_fma_f16 v43, v11, v44, v58 op_sel_hi:[1,0,1]
	v_pk_fma_f16 v11, v11, v44, v60 op_sel:[0,1,0]
	v_pk_fma_f16 v62, v12, v44, v59 op_sel_hi:[1,0,1]
	v_pk_fma_f16 v12, v12, v44, v42 op_sel:[0,1,0]
	ds_load_2addr_b64 v[58:61], v87 offset0:192 offset1:224
	v_pk_fma_f16 v42, v13, v45, v43 op_sel_hi:[1,0,1]
	v_pk_fma_f16 v11, v13, v45, v11 op_sel:[0,1,0]
	v_pk_fma_f16 v13, v14, v45, v62 op_sel_hi:[1,0,1]
	v_pk_fma_f16 v12, v14, v45, v12 op_sel:[0,1,0]
	s_waitcnt lgkmcnt(0)
	v_pk_fma_f16 v14, v34, v50, v42 op_sel_hi:[1,0,1]
	v_pk_fma_f16 v11, v34, v50, v11 op_sel:[0,1,0]
	v_pk_fma_f16 v13, v35, v50, v13 op_sel_hi:[1,0,1]
	v_pk_fma_f16 v12, v35, v50, v12 op_sel:[0,1,0]
	s_barrier
	v_pk_fma_f16 v14, v36, v51, v14 op_sel_hi:[1,0,1]
	v_pk_fma_f16 v11, v36, v51, v11 op_sel:[0,1,0]
	v_pk_fma_f16 v13, v37, v51, v13 op_sel_hi:[1,0,1]
	v_pk_fma_f16 v12, v37, v51, v12 op_sel:[0,1,0]
	buffer_gl0_inv
	v_pk_fma_f16 v14, v38, v52, v14 op_sel_hi:[1,0,1]
	v_pk_fma_f16 v11, v38, v52, v11 op_sel:[0,1,0]
	v_pk_fma_f16 v13, v39, v52, v13 op_sel_hi:[1,0,1]
	v_pk_fma_f16 v12, v39, v52, v12 op_sel:[0,1,0]
	s_load_b32 s11, s[2:3], 0x4
	v_pk_fma_f16 v14, v40, v53, v14 op_sel_hi:[1,0,1]
	v_pk_fma_f16 v11, v40, v53, v11 op_sel:[0,1,0]
	v_pk_fma_f16 v13, v41, v53, v13 op_sel_hi:[1,0,1]
	v_pk_fma_f16 v12, v41, v53, v12 op_sel:[0,1,0]
	s_delay_alu instid0(VALU_DEP_4) | instskip(NEXT) | instid1(VALU_DEP_4)
	v_pk_fma_f16 v14, v46, v54, v14 op_sel_hi:[1,0,1]
	v_pk_fma_f16 v11, v46, v54, v11 op_sel:[0,1,0]
	s_delay_alu instid0(VALU_DEP_4) | instskip(NEXT) | instid1(VALU_DEP_4)
	;; [unrolled: 3-line block ×6, first 2 shown]
	v_pk_fma_f16 v25, v59, v56, v13 op_sel_hi:[1,0,1]
	v_pk_fma_f16 v12, v59, v56, v12 op_sel:[0,1,0]
	s_waitcnt lgkmcnt(0)
	s_lshl_b32 s11, s11, 5
	v_pk_fma_f16 v13, v60, v57, v14 op_sel_hi:[1,0,1]
	v_pk_fma_f16 v11, v60, v57, v11 op_sel:[0,1,0]
	v_pk_fma_f16 v14, v61, v57, v25 op_sel_hi:[1,0,1]
	v_pk_fma_f16 v12, v61, v57, v12 op_sel:[0,1,0]
	s_add_i32 s4, s11, s4
	s_delay_alu instid0(SALU_CYCLE_1)
	s_cmp_ge_i32 s4, s34
	s_cbranch_scc1 .LBB22_23
; %bb.22:                               ;   in Loop: Header=BB22_13 Depth=1
	v_dual_mov_b32 v26, v3 :: v_dual_mov_b32 v27, v4
	v_mov_b32_e32 v25, v28
	s_branch .LBB22_13
.LBB22_23:
	v_mov_b32_e32 v2, v5
.LBB22_24:
	v_cmp_lt_i32_e32 vcc_lo, v33, v6
	s_cmp_lg_u64 s[24:25], 0
	s_cselect_b32 s2, -1, 0
	s_cmp_eq_u32 s14, 0
	v_cndmask_b32_e32 v5, v2, v33, vcc_lo
	v_cmp_lt_i32_e32 vcc_lo, v29, v6
	s_cselect_b32 s3, -1, 0
	s_delay_alu instid0(SALU_CYCLE_1) | instskip(SKIP_2) | instid1(VALU_DEP_2)
	s_and_b32 s2, s3, s2
	v_cndmask_b32_e32 v15, v2, v29, vcc_lo
	v_cmp_lt_i32_e32 vcc_lo, v30, v6
	v_dual_cndmask_b32 v16, v2, v30 :: v_dual_lshlrev_b32 v15, 2, v15
	v_cmp_lt_i32_e32 vcc_lo, v31, v6
	s_delay_alu instid0(VALU_DEP_2)
	v_lshlrev_b32_e32 v16, 2, v16
	v_lshlrev_b32_e32 v5, 2, v5
	ds_bpermute_b32 v8, v5, v7
	ds_bpermute_b32 v5, v5, v28
	s_waitcnt lgkmcnt(1)
	v_add_f32_e32 v7, v7, v8
	s_waitcnt lgkmcnt(0)
	v_add_f32_e32 v5, v28, v5
	ds_bpermute_b32 v8, v15, v7
	ds_bpermute_b32 v15, v15, v5
	s_waitcnt lgkmcnt(1)
	v_add_f32_e32 v7, v7, v8
	ds_bpermute_b32 v8, v16, v7
	s_waitcnt lgkmcnt(0)
	v_add_f32_e32 v7, v7, v8
	v_add_f32_e32 v5, v5, v15
	ds_bpermute_b32 v15, v16, v5
	v_cndmask_b32_e32 v16, v2, v31, vcc_lo
	v_cmp_lt_i32_e32 vcc_lo, v32, v6
	s_delay_alu instid0(VALU_DEP_2)
	v_lshlrev_b32_e32 v16, 2, v16
	v_cndmask_b32_e32 v2, v2, v32, vcc_lo
	s_and_b32 vcc_lo, exec_lo, s2
	ds_bpermute_b32 v8, v16, v7
	v_lshlrev_b32_e32 v2, 2, v2
	s_waitcnt lgkmcnt(0)
	v_dual_add_f32 v6, v7, v8 :: v_dual_add_f32 v5, v5, v15
	ds_bpermute_b32 v15, v16, v5
	s_waitcnt lgkmcnt(0)
	v_add_f32_e32 v7, v5, v15
	ds_bpermute_b32 v5, v2, v6
	ds_bpermute_b32 v2, v2, v7
	s_waitcnt lgkmcnt(0)
	v_dual_add_f32 v5, v6, v5 :: v_dual_add_f32 v6, v7, v2
	s_cbranch_vccz .LBB22_27
; %bb.25:
	v_dual_max_f32 v2, v3, v3 :: v_dual_add_nc_u32 v7, s15, v9
	v_max_f32_e32 v16, v4, v4
	s_delay_alu instid0(VALU_DEP_2) | instskip(NEXT) | instid1(VALU_DEP_1)
	v_ashrrev_i32_e32 v8, 31, v7
	v_lshlrev_b64 v[7:8], 2, v[7:8]
	s_delay_alu instid0(VALU_DEP_1) | instskip(NEXT) | instid1(VALU_DEP_2)
	v_add_co_u32 v7, vcc_lo, s24, v7
	v_add_co_ci_u32_e32 v8, vcc_lo, s25, v8, vcc_lo
	global_load_b64 v[7:8], v[7:8], off
	s_waitcnt vmcnt(0)
	v_max_f32_e32 v15, v7, v7
	s_delay_alu instid0(VALU_DEP_1) | instskip(NEXT) | instid1(VALU_DEP_1)
	v_max_f32_e32 v15, v2, v15
	v_dual_max_f32 v17, v8, v8 :: v_dual_sub_f32 v2, v3, v15
	s_delay_alu instid0(VALU_DEP_1) | instskip(NEXT) | instid1(VALU_DEP_1)
	v_dual_max_f32 v16, v16, v17 :: v_dual_sub_f32 v3, v7, v15
	v_dual_mul_f32 v7, 0x3fb8aa3b, v2 :: v_dual_sub_f32 v4, v4, v16
	s_delay_alu instid0(VALU_DEP_2) | instskip(SKIP_1) | instid1(VALU_DEP_3)
	v_dual_sub_f32 v8, v8, v16 :: v_dual_mul_f32 v17, 0x3fb8aa3b, v3
	v_cmp_ngt_f32_e32 vcc_lo, 0xc2ce8ed0, v2
	v_fma_f32 v20, 0x3fb8aa3b, v2, -v7
	s_delay_alu instid0(VALU_DEP_4)
	v_mul_f32_e32 v18, 0x3fb8aa3b, v4
	v_rndne_f32_e32 v21, v7
	v_fma_f32 v22, 0x3fb8aa3b, v3, -v17
	v_rndne_f32_e32 v23, v17
	v_fmac_f32_e32 v20, 0x32a5705f, v2
	v_fma_f32 v24, 0x3fb8aa3b, v4, -v18
	v_sub_f32_e32 v7, v7, v21
	v_rndne_f32_e32 v25, v18
	v_mul_f32_e32 v19, 0x3fb8aa3b, v8
	v_fmac_f32_e32 v22, 0x32a5705f, v3
	v_dual_sub_f32 v17, v17, v23 :: v_dual_fmac_f32 v24, 0x32a5705f, v4
	s_delay_alu instid0(VALU_DEP_4) | instskip(SKIP_1) | instid1(VALU_DEP_3)
	v_dual_sub_f32 v18, v18, v25 :: v_dual_add_f32 v7, v7, v20
	v_cvt_i32_f32_e32 v20, v21
	v_add_f32_e32 v17, v17, v22
	v_cvt_i32_f32_e32 v21, v23
	s_delay_alu instid0(VALU_DEP_4)
	v_add_f32_e32 v18, v18, v24
	v_exp_f32_e32 v7, v7
	v_cvt_i32_f32_e32 v22, v25
	v_exp_f32_e32 v17, v17
	v_fma_f32 v26, 0x3fb8aa3b, v8, -v19
	v_exp_f32_e32 v18, v18
	v_rndne_f32_e32 v27, v19
	s_delay_alu instid0(VALU_DEP_1) | instskip(NEXT) | instid1(TRANS32_DEP_3)
	v_dual_fmac_f32 v26, 0x32a5705f, v8 :: v_dual_sub_f32 v19, v19, v27
	v_ldexp_f32 v7, v7, v20
	s_waitcnt_depctr 0xfff
	v_ldexp_f32 v17, v17, v21
	v_cvt_i32_f32_e32 v23, v27
	v_ldexp_f32 v18, v18, v22
	v_cndmask_b32_e32 v7, 0, v7, vcc_lo
	v_cmp_ngt_f32_e32 vcc_lo, 0xc2ce8ed0, v3
	v_cndmask_b32_e32 v17, 0, v17, vcc_lo
	v_cmp_ngt_f32_e32 vcc_lo, 0xc2ce8ed0, v4
	v_cndmask_b32_e32 v18, 0, v18, vcc_lo
	v_add_f32_e32 v19, v19, v26
	v_cmp_ngt_f32_e32 vcc_lo, 0xc2ce8ed0, v8
	s_delay_alu instid0(VALU_DEP_2) | instskip(SKIP_2) | instid1(VALU_DEP_1)
	v_exp_f32_e32 v19, v19
	s_waitcnt_depctr 0xfff
	v_ldexp_f32 v19, v19, v23
	v_cndmask_b32_e32 v19, 0, v19, vcc_lo
	v_cmp_nlt_f32_e32 vcc_lo, 0x42b17218, v2
	v_cndmask_b32_e32 v2, 0x7f800000, v7, vcc_lo
	v_cmp_nlt_f32_e32 vcc_lo, 0x42b17218, v3
	;; [unrolled: 2-line block ×3, first 2 shown]
	v_dual_mov_b32 v3, v15 :: v_dual_mov_b32 v4, v16
	v_cndmask_b32_e32 v17, 0x7f800000, v18, vcc_lo
	v_cmp_nlt_f32_e32 vcc_lo, 0x42b17218, v8
	v_cvt_f16_f32_e32 v18, v2
	s_delay_alu instid0(VALU_DEP_3) | instskip(SKIP_1) | instid1(VALU_DEP_3)
	v_cvt_f16_f32_e32 v15, v17
	v_cndmask_b32_e32 v8, 0x7f800000, v19, vcc_lo
	v_pk_mul_f16 v13, v18, v13 op_sel_hi:[0,1]
	v_pk_mul_f16 v14, v18, v14 op_sel_hi:[0,1]
	s_delay_alu instid0(VALU_DEP_4) | instskip(NEXT) | instid1(VALU_DEP_4)
	v_pk_mul_f16 v11, v15, v11 op_sel_hi:[0,1]
	v_fmac_f32_e32 v8, v6, v17
	v_pk_mul_f16 v12, v15, v12 op_sel_hi:[0,1]
	s_delay_alu instid0(VALU_DEP_2) | instskip(NEXT) | instid1(VALU_DEP_1)
	v_dual_mov_b32 v6, v8 :: v_dual_fmac_f32 v7, v5, v2
	v_mov_b32_e32 v5, v7
	s_mov_b32 s2, exec_lo
	v_cmpx_gt_i32_e64 s6, v1
	s_cbranch_execnz .LBB22_28
.LBB22_26:
	s_nop 0
	s_sendmsg sendmsg(MSG_DEALLOC_VGPRS)
	s_endpgm
.LBB22_27:
	s_delay_alu instid0(VALU_DEP_1)
	v_dual_mov_b32 v8, v6 :: v_dual_mov_b32 v7, v5
	s_mov_b32 s2, exec_lo
	v_cmpx_gt_i32_e64 s6, v1
	s_cbranch_execz .LBB22_26
.LBB22_28:
	s_load_b32 s1, s[0:1], 0xd4
	v_mov_b32_e32 v15, 1.0
	s_waitcnt lgkmcnt(0)
	s_cmp_lg_u32 s1, 1
	s_cselect_b32 s3, -1, 0
	s_cmp_eq_u32 s1, 1
	s_cselect_b32 s2, -1, 0
	s_and_b32 vcc_lo, exec_lo, s3
	s_cbranch_vccnz .LBB22_30
; %bb.29:
	v_div_scale_f32 v2, null, v5, v5, 1.0
	s_delay_alu instid0(VALU_DEP_1) | instskip(SKIP_2) | instid1(VALU_DEP_1)
	v_rcp_f32_e32 v15, v2
	s_waitcnt_depctr 0xfff
	v_fma_f32 v16, -v2, v15, 1.0
	v_fmac_f32_e32 v15, v16, v15
	v_div_scale_f32 v16, vcc_lo, 1.0, v5, 1.0
	s_delay_alu instid0(VALU_DEP_1) | instskip(NEXT) | instid1(VALU_DEP_1)
	v_mul_f32_e32 v17, v16, v15
	v_fma_f32 v18, -v2, v17, v16
	s_delay_alu instid0(VALU_DEP_1) | instskip(NEXT) | instid1(VALU_DEP_1)
	v_fmac_f32_e32 v17, v18, v15
	v_fma_f32 v2, -v2, v17, v16
	s_delay_alu instid0(VALU_DEP_1) | instskip(NEXT) | instid1(VALU_DEP_1)
	v_div_fmas_f32 v2, v2, v15, v17
	v_div_fixup_f32 v15, v2, v5, 1.0
.LBB22_30:
	v_mad_u64_u32 v[16:17], null, s12, s6, v[1:2]
	v_cmp_eq_u32_e32 vcc_lo, 0, v0
	v_lshrrev_b32_e32 v0, 16, v13
	s_delay_alu instid0(VALU_DEP_1) | instskip(NEXT) | instid1(VALU_DEP_4)
	v_cvt_f32_f16_e32 v0, v0
	v_mul_lo_u32 v1, v16, s7
	s_delay_alu instid0(VALU_DEP_1) | instskip(SKIP_1) | instid1(VALU_DEP_2)
	v_add3_u32 v5, s15, v9, v1
	v_cvt_f32_f16_e32 v9, v14
	v_mad_u64_u32 v[1:2], null, s1, v5, s[14:15]
	v_cvt_f32_f16_e32 v5, v13
	v_mov_b32_e32 v17, 0
	v_lshrrev_b32_e32 v2, 16, v14
	v_mul_f32_e32 v18, v15, v9
	v_lshl_add_u32 v16, v1, 7, v10
	s_delay_alu instid0(VALU_DEP_3) | instskip(NEXT) | instid1(VALU_DEP_2)
	v_cvt_f32_f16_e32 v2, v2
	v_lshlrev_b64 v[13:14], 2, v[16:17]
	v_mul_f32_e32 v16, v15, v5
	v_mul_f32_e32 v17, v15, v0
	s_delay_alu instid0(VALU_DEP_4) | instskip(NEXT) | instid1(VALU_DEP_4)
	v_mul_f32_e32 v19, v15, v2
	v_add_co_u32 v13, s0, s28, v13
	s_delay_alu instid0(VALU_DEP_1)
	v_add_co_ci_u32_e64 v14, s0, s29, v14, s0
	s_and_b32 s0, vcc_lo, s3
	global_store_b128 v[13:14], v[16:19], off
	s_and_saveexec_b32 s3, s0
	s_cbranch_execz .LBB22_32
; %bb.31:
	v_ashrrev_i32_e32 v2, 31, v1
	s_delay_alu instid0(VALU_DEP_1) | instskip(SKIP_2) | instid1(VALU_DEP_3)
	v_lshlrev_b64 v[13:14], 3, v[1:2]
	v_mov_b32_e32 v2, v3
	v_mov_b32_e32 v3, v7
	v_add_co_u32 v13, vcc_lo, s30, v13
	s_delay_alu instid0(VALU_DEP_4)
	v_add_co_ci_u32_e32 v14, vcc_lo, s31, v14, vcc_lo
	global_store_b64 v[13:14], v[2:3], off
.LBB22_32:
	s_or_b32 exec_lo, exec_lo, s3
	v_mov_b32_e32 v2, 1.0
	s_and_not1_b32 vcc_lo, exec_lo, s2
	s_cbranch_vccnz .LBB22_34
; %bb.33:
	v_div_scale_f32 v0, null, v6, v6, 1.0
	s_delay_alu instid0(VALU_DEP_1) | instskip(SKIP_2) | instid1(VALU_DEP_1)
	v_rcp_f32_e32 v2, v0
	s_waitcnt_depctr 0xfff
	v_fma_f32 v3, -v0, v2, 1.0
	v_fmac_f32_e32 v2, v3, v2
	v_div_scale_f32 v3, vcc_lo, 1.0, v6, 1.0
	s_delay_alu instid0(VALU_DEP_1) | instskip(NEXT) | instid1(VALU_DEP_1)
	v_mul_f32_e32 v5, v3, v2
	v_fma_f32 v7, -v0, v5, v3
	s_delay_alu instid0(VALU_DEP_1) | instskip(NEXT) | instid1(VALU_DEP_1)
	v_fmac_f32_e32 v5, v7, v2
	v_fma_f32 v0, -v0, v5, v3
	s_delay_alu instid0(VALU_DEP_1) | instskip(NEXT) | instid1(VALU_DEP_1)
	v_div_fmas_f32 v0, v0, v2, v5
	v_div_fixup_f32 v2, v0, v6, 1.0
.LBB22_34:
	v_cvt_f32_f16_e32 v7, v11
	v_add_nc_u32_e32 v0, s1, v1
	v_lshrrev_b32_e32 v1, 16, v11
	v_lshrrev_b32_e32 v3, 16, v12
	s_delay_alu instid0(VALU_DEP_4) | instskip(NEXT) | instid1(VALU_DEP_4)
	v_mul_f32_e32 v9, v2, v7
	v_lshl_add_u32 v5, v0, 7, v10
	v_cvt_f32_f16_e32 v10, v12
	v_mov_b32_e32 v6, 0
	v_cvt_f32_f16_e32 v1, v1
	v_cvt_f32_f16_e32 v3, v3
	s_delay_alu instid0(VALU_DEP_4) | instskip(NEXT) | instid1(VALU_DEP_4)
	v_mul_f32_e32 v11, v2, v10
	v_lshlrev_b64 v[5:6], 2, v[5:6]
	s_delay_alu instid0(VALU_DEP_4) | instskip(NEXT) | instid1(VALU_DEP_4)
	v_mul_f32_e32 v10, v2, v1
	v_mul_f32_e32 v12, v2, v3
	s_delay_alu instid0(VALU_DEP_3) | instskip(NEXT) | instid1(VALU_DEP_4)
	v_add_co_u32 v1, vcc_lo, s28, v5
	v_add_co_ci_u32_e32 v2, vcc_lo, s29, v6, vcc_lo
	global_store_b128 v[1:2], v[9:12], off
	s_and_b32 exec_lo, exec_lo, s0
	s_cbranch_execz .LBB22_26
; %bb.35:
	v_ashrrev_i32_e32 v1, 31, v0
	v_mov_b32_e32 v7, v4
	s_delay_alu instid0(VALU_DEP_2) | instskip(NEXT) | instid1(VALU_DEP_1)
	v_lshlrev_b64 v[0:1], 3, v[0:1]
	v_add_co_u32 v0, vcc_lo, s30, v0
	s_delay_alu instid0(VALU_DEP_2)
	v_add_co_ci_u32_e32 v1, vcc_lo, s31, v1, vcc_lo
	global_store_b64 v[0:1], v[7:8], off
	s_nop 0
	s_sendmsg sendmsg(MSG_DEALLOC_VGPRS)
	s_endpgm
	.section	.rodata,"a",@progbits
	.p2align	6, 0x0
	.amdhsa_kernel _ZL15flash_attn_tileILi192ELi128ELi2ELi8ELb1EEvPKcS1_S1_S1_S1_PKiPfP15HIP_vector_typeIfLj2EEffffjfiS5_IjLj3EEiiiiiiiiiiiliiliiiiil
		.amdhsa_group_segment_fixed_size 11776
		.amdhsa_private_segment_fixed_size 0
		.amdhsa_kernarg_size 464
		.amdhsa_user_sgpr_count 13
		.amdhsa_user_sgpr_dispatch_ptr 0
		.amdhsa_user_sgpr_queue_ptr 0
		.amdhsa_user_sgpr_kernarg_segment_ptr 1
		.amdhsa_user_sgpr_dispatch_id 0
		.amdhsa_user_sgpr_private_segment_size 0
		.amdhsa_wavefront_size32 1
		.amdhsa_uses_dynamic_stack 0
		.amdhsa_enable_private_segment 0
		.amdhsa_system_sgpr_workgroup_id_x 1
		.amdhsa_system_sgpr_workgroup_id_y 1
		.amdhsa_system_sgpr_workgroup_id_z 1
		.amdhsa_system_sgpr_workgroup_info 0
		.amdhsa_system_vgpr_workitem_id 1
		.amdhsa_next_free_vgpr 94
		.amdhsa_next_free_sgpr 40
		.amdhsa_reserve_vcc 1
		.amdhsa_float_round_mode_32 0
		.amdhsa_float_round_mode_16_64 0
		.amdhsa_float_denorm_mode_32 3
		.amdhsa_float_denorm_mode_16_64 3
		.amdhsa_dx10_clamp 1
		.amdhsa_ieee_mode 1
		.amdhsa_fp16_overflow 0
		.amdhsa_workgroup_processor_mode 1
		.amdhsa_memory_ordered 1
		.amdhsa_forward_progress 0
		.amdhsa_shared_vgpr_count 0
		.amdhsa_exception_fp_ieee_invalid_op 0
		.amdhsa_exception_fp_denorm_src 0
		.amdhsa_exception_fp_ieee_div_zero 0
		.amdhsa_exception_fp_ieee_overflow 0
		.amdhsa_exception_fp_ieee_underflow 0
		.amdhsa_exception_fp_ieee_inexact 0
		.amdhsa_exception_int_div_zero 0
	.end_amdhsa_kernel
	.section	.text._ZL15flash_attn_tileILi192ELi128ELi2ELi8ELb1EEvPKcS1_S1_S1_S1_PKiPfP15HIP_vector_typeIfLj2EEffffjfiS5_IjLj3EEiiiiiiiiiiiliiliiiiil,"axG",@progbits,_ZL15flash_attn_tileILi192ELi128ELi2ELi8ELb1EEvPKcS1_S1_S1_S1_PKiPfP15HIP_vector_typeIfLj2EEffffjfiS5_IjLj3EEiiiiiiiiiiiliiliiiiil,comdat
.Lfunc_end22:
	.size	_ZL15flash_attn_tileILi192ELi128ELi2ELi8ELb1EEvPKcS1_S1_S1_S1_PKiPfP15HIP_vector_typeIfLj2EEffffjfiS5_IjLj3EEiiiiiiiiiiiliiliiiiil, .Lfunc_end22-_ZL15flash_attn_tileILi192ELi128ELi2ELi8ELb1EEvPKcS1_S1_S1_S1_PKiPfP15HIP_vector_typeIfLj2EEffffjfiS5_IjLj3EEiiiiiiiiiiiliiliiiiil
                                        ; -- End function
	.section	.AMDGPU.csdata,"",@progbits
; Kernel info:
; codeLenInByte = 11200
; NumSgprs: 42
; NumVgprs: 94
; ScratchSize: 0
; MemoryBound: 0
; FloatMode: 240
; IeeeMode: 1
; LDSByteSize: 11776 bytes/workgroup (compile time only)
; SGPRBlocks: 5
; VGPRBlocks: 11
; NumSGPRsForWavesPerEU: 42
; NumVGPRsForWavesPerEU: 94
; Occupancy: 16
; WaveLimiterHint : 1
; COMPUTE_PGM_RSRC2:SCRATCH_EN: 0
; COMPUTE_PGM_RSRC2:USER_SGPR: 13
; COMPUTE_PGM_RSRC2:TRAP_HANDLER: 0
; COMPUTE_PGM_RSRC2:TGID_X_EN: 1
; COMPUTE_PGM_RSRC2:TGID_Y_EN: 1
; COMPUTE_PGM_RSRC2:TGID_Z_EN: 1
; COMPUTE_PGM_RSRC2:TIDIG_COMP_CNT: 1
	.section	.text._ZL15flash_attn_tileILi192ELi128ELi1ELi8ELb1EEvPKcS1_S1_S1_S1_PKiPfP15HIP_vector_typeIfLj2EEffffjfiS5_IjLj3EEiiiiiiiiiiiliiliiiiil,"axG",@progbits,_ZL15flash_attn_tileILi192ELi128ELi1ELi8ELb1EEvPKcS1_S1_S1_S1_PKiPfP15HIP_vector_typeIfLj2EEffffjfiS5_IjLj3EEiiiiiiiiiiiliiliiiiil,comdat
	.globl	_ZL15flash_attn_tileILi192ELi128ELi1ELi8ELb1EEvPKcS1_S1_S1_S1_PKiPfP15HIP_vector_typeIfLj2EEffffjfiS5_IjLj3EEiiiiiiiiiiiliiliiiiil ; -- Begin function _ZL15flash_attn_tileILi192ELi128ELi1ELi8ELb1EEvPKcS1_S1_S1_S1_PKiPfP15HIP_vector_typeIfLj2EEffffjfiS5_IjLj3EEiiiiiiiiiiiliiliiiiil
	.p2align	8
	.type	_ZL15flash_attn_tileILi192ELi128ELi1ELi8ELb1EEvPKcS1_S1_S1_S1_PKiPfP15HIP_vector_typeIfLj2EEffffjfiS5_IjLj3EEiiiiiiiiiiiliiliiiiil,@function
_ZL15flash_attn_tileILi192ELi128ELi1ELi8ELb1EEvPKcS1_S1_S1_S1_PKiPfP15HIP_vector_typeIfLj2EEffffjfiS5_IjLj3EEiiiiiiiiiiiliiliiiiil: ; @_ZL15flash_attn_tileILi192ELi128ELi1ELi8ELb1EEvPKcS1_S1_S1_S1_PKiPfP15HIP_vector_typeIfLj2EEffffjfiS5_IjLj3EEiiiiiiiiiiiliiliiiiil
; %bb.0:
	s_clause 0x1
	s_load_b128 s[4:7], s[0:1], 0x5c
	s_load_b64 s[34:35], s[0:1], 0x80
	s_mov_b64 s[36:37], 0
	s_waitcnt lgkmcnt(0)
	s_ashr_i32 s2, s7, 31
	s_delay_alu instid0(SALU_CYCLE_1) | instskip(NEXT) | instid1(SALU_CYCLE_1)
	s_lshr_b32 s2, s2, 29
	s_add_i32 s2, s7, s2
	s_delay_alu instid0(SALU_CYCLE_1) | instskip(NEXT) | instid1(SALU_CYCLE_1)
	s_ashr_i32 s2, s2, 3
	v_cvt_f32_u32_e32 v1, s2
	s_sub_i32 s8, 0, s2
	s_delay_alu instid0(VALU_DEP_1) | instskip(SKIP_2) | instid1(VALU_DEP_1)
	v_rcp_iflag_f32_e32 v1, v1
	s_waitcnt_depctr 0xfff
	v_mul_f32_e32 v1, 0x4f7ffffe, v1
	v_cvt_u32_f32_e32 v1, v1
	s_delay_alu instid0(VALU_DEP_1) | instskip(NEXT) | instid1(VALU_DEP_1)
	v_readfirstlane_b32 s3, v1
	s_mul_i32 s8, s8, s3
	s_delay_alu instid0(SALU_CYCLE_1) | instskip(NEXT) | instid1(SALU_CYCLE_1)
	s_mul_hi_u32 s8, s3, s8
	s_add_i32 s3, s3, s8
	s_delay_alu instid0(SALU_CYCLE_1) | instskip(NEXT) | instid1(SALU_CYCLE_1)
	s_mul_hi_u32 s3, s15, s3
	s_mul_i32 s8, s3, s2
	s_add_i32 s9, s3, 1
	s_sub_i32 s8, s15, s8
	s_delay_alu instid0(SALU_CYCLE_1)
	s_sub_i32 s10, s8, s2
	s_cmp_ge_u32 s8, s2
	s_cselect_b32 s3, s9, s3
	s_cselect_b32 s8, s10, s8
	s_add_i32 s9, s3, 1
	s_cmp_ge_u32 s8, s2
	s_cselect_b32 s12, s9, s3
	s_abs_i32 s2, s35
	s_abs_i32 s11, s7
	v_cvt_f32_u32_e32 v1, s2
	s_sub_i32 s8, 0, s2
	s_lshl_b32 s9, s15, 3
	s_mul_i32 s10, s12, s7
	s_delay_alu instid0(VALU_DEP_1) | instskip(SKIP_3) | instid1(VALU_DEP_1)
	v_rcp_iflag_f32_e32 v1, v1
	s_sub_i32 s15, s9, s10
	s_waitcnt_depctr 0xfff
	v_mul_f32_e32 v1, 0x4f7ffffe, v1
	v_cvt_u32_f32_e32 v1, v1
	s_delay_alu instid0(VALU_DEP_1) | instskip(NEXT) | instid1(VALU_DEP_1)
	v_readfirstlane_b32 s3, v1
	s_mul_i32 s8, s8, s3
	s_delay_alu instid0(SALU_CYCLE_1) | instskip(NEXT) | instid1(SALU_CYCLE_1)
	s_mul_hi_u32 s8, s3, s8
	s_add_i32 s3, s3, s8
	s_xor_b32 s8, s7, s35
	s_mul_hi_u32 s3, s11, s3
	s_ashr_i32 s8, s8, 31
	s_mul_i32 s9, s3, s2
	s_add_i32 s10, s3, 1
	s_sub_i32 s9, s11, s9
	s_delay_alu instid0(SALU_CYCLE_1)
	s_sub_i32 s11, s9, s2
	s_cmp_ge_u32 s9, s2
	s_cselect_b32 s3, s10, s3
	s_cselect_b32 s9, s11, s9
	s_add_i32 s10, s3, 1
	s_cmp_ge_u32 s9, s2
	s_cselect_b32 s2, s10, s3
	s_delay_alu instid0(SALU_CYCLE_1) | instskip(NEXT) | instid1(SALU_CYCLE_1)
	s_xor_b32 s2, s2, s8
	s_sub_i32 s35, s2, s8
	s_clause 0x1
	s_load_b512 s[16:31], s[0:1], 0x0
	s_load_b64 s[2:3], s[0:1], 0xb8
	s_abs_i32 s33, s35
	s_delay_alu instid0(SALU_CYCLE_1) | instskip(NEXT) | instid1(VALU_DEP_1)
	v_cvt_f32_u32_e32 v1, s33
	v_rcp_iflag_f32_e32 v1, v1
	s_waitcnt_depctr 0xfff
	v_mul_f32_e32 v1, 0x4f7ffffe, v1
	s_waitcnt lgkmcnt(0)
	s_cmp_eq_u64 s[22:23], 0
	s_delay_alu instid0(VALU_DEP_1) | instskip(NEXT) | instid1(VALU_DEP_1)
	v_cvt_u32_f32_e32 v1, v1
	v_readfirstlane_b32 s38, v1
	s_cbranch_scc1 .LBB23_2
; %bb.1:
	s_abs_i32 s2, s2
	s_abs_i32 s10, s12
	v_cvt_f32_u32_e32 v1, s2
	s_sub_i32 s9, 0, s2
	s_delay_alu instid0(VALU_DEP_1) | instskip(SKIP_2) | instid1(VALU_DEP_1)
	v_rcp_iflag_f32_e32 v1, v1
	s_waitcnt_depctr 0xfff
	v_mul_f32_e32 v1, 0x4f7ffffe, v1
	v_cvt_u32_f32_e32 v1, v1
	s_delay_alu instid0(VALU_DEP_1) | instskip(NEXT) | instid1(VALU_DEP_1)
	v_readfirstlane_b32 s8, v1
	s_mul_i32 s9, s9, s8
	s_delay_alu instid0(SALU_CYCLE_1) | instskip(NEXT) | instid1(SALU_CYCLE_1)
	s_mul_hi_u32 s9, s8, s9
	s_add_i32 s11, s8, s9
	s_load_b64 s[8:9], s[0:1], 0xc8
	s_mul_hi_u32 s11, s10, s11
	s_delay_alu instid0(SALU_CYCLE_1) | instskip(NEXT) | instid1(SALU_CYCLE_1)
	s_mul_i32 s11, s11, s2
	s_sub_i32 s10, s10, s11
	s_ashr_i32 s11, s12, 31
	s_sub_i32 s36, s10, s2
	s_cmp_ge_u32 s10, s2
	s_cselect_b32 s10, s36, s10
	s_delay_alu instid0(SALU_CYCLE_1) | instskip(SKIP_2) | instid1(SALU_CYCLE_1)
	s_sub_i32 s36, s10, s2
	s_cmp_ge_u32 s10, s2
	s_cselect_b32 s2, s36, s10
	s_xor_b32 s2, s2, s11
	s_delay_alu instid0(SALU_CYCLE_1)
	s_sub_i32 s2, s2, s11
	s_waitcnt lgkmcnt(0)
	s_mul_i32 s9, s2, s9
	s_mul_hi_u32 s10, s2, s8
	s_ashr_i32 s11, s2, 31
	s_add_i32 s9, s10, s9
	s_mul_i32 s11, s11, s8
	s_mul_i32 s2, s2, s8
	s_add_i32 s9, s9, s11
	s_add_u32 s36, s22, s2
	s_addc_u32 s37, s23, s9
.LBB23_2:
	v_bfe_u32 v4, v0, 10, 10
	s_load_b128 s[8:11], s[0:1], 0x70
	v_and_b32_e32 v0, 0x3ff, v0
	s_delay_alu instid0(VALU_DEP_2) | instskip(SKIP_2) | instid1(VALU_DEP_3)
	v_lshrrev_b32_e32 v1, 2, v4
	v_lshlrev_b32_e32 v6, 1, v4
	v_mul_u32_u24_e32 v17, 0xc0, v4
	v_add_nc_u32_e32 v1, s13, v1
	s_delay_alu instid0(VALU_DEP_3) | instskip(NEXT) | instid1(VALU_DEP_2)
	v_and_b32_e32 v16, 6, v6
	v_mul_hi_u32 v2, s4, v1
	s_waitcnt lgkmcnt(0)
	s_mul_i32 s2, s12, s10
	s_mul_i32 s4, s15, s9
	s_delay_alu instid0(VALU_DEP_1) | instskip(NEXT) | instid1(VALU_DEP_1)
	v_add_nc_u32_e32 v2, v1, v2
	v_lshrrev_b32_e32 v2, s5, v2
	s_ashr_i32 s5, s2, 31
	s_add_u32 s2, s16, s2
	s_addc_u32 s5, s17, s5
	s_ashr_i32 s10, s4, 31
	v_mul_lo_u32 v2, v2, s6
	s_add_u32 s2, s2, s4
	s_addc_u32 s4, s5, s10
	s_ashr_i32 s10, s8, 31
	s_ashr_i32 s5, s9, 31
	v_alignbit_b32 v7, s10, s8, 2
	v_alignbit_b32 v9, s5, s9, 2
	s_lshr_b32 s8, s10, 2
	v_sub_nc_u32_e32 v5, v1, v2
	s_delay_alu instid0(VALU_DEP_1) | instskip(NEXT) | instid1(VALU_DEP_3)
	v_mad_u64_u32 v[2:3], null, v7, v5, 0
	v_mad_u64_u32 v[7:8], null, v9, v16, 0
	s_delay_alu instid0(VALU_DEP_2) | instskip(SKIP_1) | instid1(VALU_DEP_1)
	v_mad_u64_u32 v[9:10], null, s8, v5, v[3:4]
	s_lshr_b32 s8, s5, 2
	v_mov_b32_e32 v3, v9
	s_delay_alu instid0(VALU_DEP_3) | instskip(SKIP_2) | instid1(VALU_DEP_3)
	v_mad_u64_u32 v[9:10], null, s8, v16, v[8:9]
	v_lshlrev_b32_e32 v10, 4, v0
	s_load_b32 s8, s[0:1], 0x40
	v_lshlrev_b64 v[2:3], 2, v[2:3]
	s_delay_alu instid0(VALU_DEP_3) | instskip(NEXT) | instid1(VALU_DEP_2)
	v_mov_b32_e32 v8, v9
	v_add_co_u32 v9, vcc_lo, s2, v2
	s_delay_alu instid0(VALU_DEP_3) | instskip(NEXT) | instid1(VALU_DEP_3)
	v_add_co_ci_u32_e32 v11, vcc_lo, s4, v3, vcc_lo
	v_lshlrev_b64 v[2:3], 2, v[7:8]
	s_delay_alu instid0(VALU_DEP_3) | instskip(NEXT) | instid1(VALU_DEP_3)
	v_add_co_u32 v8, vcc_lo, v9, v10
	v_add_co_ci_u32_e32 v9, vcc_lo, 0, v11, vcc_lo
	v_lshlrev_b32_e32 v7, 1, v0
	s_delay_alu instid0(VALU_DEP_3) | instskip(NEXT) | instid1(VALU_DEP_3)
	v_add_co_u32 v2, vcc_lo, v8, v2
	v_add_co_ci_u32_e32 v3, vcc_lo, v9, v3, vcc_lo
	v_cmp_gt_u32_e32 vcc_lo, 16, v0
	s_mov_b32 s4, s9
	s_delay_alu instid0(SALU_CYCLE_1)
	s_lshr_b64 s[4:5], s[4:5], 2
	global_load_b128 v[10:13], v[2:3], off
	s_waitcnt vmcnt(0) lgkmcnt(0)
	v_fma_mixlo_f16 v15, v12, s8, 0
	v_fma_mixlo_f16 v14, v10, s8, 0
	v_add_lshl_u32 v10, v17, v7, 2
	s_delay_alu instid0(VALU_DEP_3) | instskip(NEXT) | instid1(VALU_DEP_3)
	v_fma_mixhi_f16 v15, v13, s8, 0
	v_fma_mixhi_f16 v14, v11, s8, 0
	ds_store_b64 v10, v[14:15] offset:4608
	s_and_saveexec_b32 s2, vcc_lo
	s_cbranch_execz .LBB23_4
; %bb.3:
	global_load_b128 v[11:14], v[2:3], off offset:512
	v_add_nc_u32_e32 v10, 0x1200, v10
	s_waitcnt vmcnt(0)
	v_fma_mixlo_f16 v3, v13, s8, 0
	v_fma_mixlo_f16 v2, v11, s8, 0
	s_delay_alu instid0(VALU_DEP_2) | instskip(NEXT) | instid1(VALU_DEP_2)
	v_fma_mixhi_f16 v3, v14, s8, 0
	v_fma_mixhi_f16 v2, v12, s8, 0
	ds_store_b64 v10, v[2:3] offset:256
.LBB23_4:
	s_or_b32 exec_lo, exec_lo, s2
	v_or_b32_e32 v12, 1, v6
	s_delay_alu instid0(VALU_DEP_1) | instskip(SKIP_1) | instid1(VALU_DEP_2)
	v_and_b32_e32 v13, 7, v12
	v_mul_u32_u24_e32 v14, 0x60, v12
	v_mad_u64_u32 v[2:3], null, s4, v13, 0
	s_delay_alu instid0(VALU_DEP_1) | instskip(NEXT) | instid1(VALU_DEP_1)
	v_mad_u64_u32 v[10:11], null, s5, v13, v[3:4]
	v_mov_b32_e32 v3, v10
	s_delay_alu instid0(VALU_DEP_1) | instskip(NEXT) | instid1(VALU_DEP_1)
	v_lshlrev_b64 v[2:3], 2, v[2:3]
	v_add_co_u32 v2, s2, v8, v2
	s_delay_alu instid0(VALU_DEP_1)
	v_add_co_ci_u32_e64 v3, s2, v9, v3, s2
	global_load_b128 v[8:11], v[2:3], off
	s_waitcnt vmcnt(0)
	v_fma_mixlo_f16 v13, v10, s8, 0
	v_fma_mixlo_f16 v12, v8, s8, 0
	v_add_lshl_u32 v8, v14, v7, 2
	s_delay_alu instid0(VALU_DEP_3) | instskip(NEXT) | instid1(VALU_DEP_3)
	v_fma_mixhi_f16 v13, v11, s8, 0
	v_fma_mixhi_f16 v12, v9, s8, 0
	ds_store_b64 v8, v[12:13] offset:4608
	s_and_saveexec_b32 s2, vcc_lo
	s_cbranch_execz .LBB23_6
; %bb.5:
	global_load_b128 v[9:12], v[2:3], off offset:512
	v_add_nc_u32_e32 v8, 0x1200, v8
	s_waitcnt vmcnt(0)
	v_fma_mixlo_f16 v3, v11, s8, 0
	v_fma_mixlo_f16 v2, v9, s8, 0
	s_delay_alu instid0(VALU_DEP_2) | instskip(NEXT) | instid1(VALU_DEP_2)
	v_fma_mixhi_f16 v3, v12, s8, 0
	v_fma_mixhi_f16 v2, v10, s8, 0
	ds_store_b64 v8, v[2:3] offset:256
.LBB23_6:
	s_or_b32 exec_lo, exec_lo, s2
	s_cmp_eq_u64 s[26:27], 0
	s_waitcnt lgkmcnt(0)
	s_barrier
	buffer_gl0_inv
	s_cbranch_scc1 .LBB23_8
; %bb.7:
	s_load_b32 s2, s[0:1], 0xd0
	s_mov_b32 s5, 0
	s_waitcnt lgkmcnt(0)
	s_mul_i32 s2, s2, s12
	s_delay_alu instid0(SALU_CYCLE_1) | instskip(NEXT) | instid1(SALU_CYCLE_1)
	s_add_i32 s4, s2, s13
	s_lshl_b64 s[4:5], s[4:5], 2
	s_delay_alu instid0(SALU_CYCLE_1)
	s_add_u32 s4, s26, s4
	s_addc_u32 s5, s27, s5
	s_load_b32 s34, s[4:5], 0x0
.LBB23_8:
	v_mbcnt_lo_u32_b32 v19, -1, 0
	s_lshl_b32 s4, s14, 5
	s_waitcnt lgkmcnt(0)
	s_cmp_lt_i32 s4, s34
	s_cbranch_scc1 .LBB23_10
; %bb.9:
	v_mbcnt_lo_u32_b32 v2, -1, 0
	v_mov_b32_e32 v22, 32
	s_mov_b32 s2, 0
	s_mov_b32 s5, 0xfeffffff
	s_delay_alu instid0(VALU_DEP_2)
	v_xor_b32_e32 v41, 16, v2
	v_xor_b32_e32 v13, 8, v2
	;; [unrolled: 1-line block ×5, first 2 shown]
	s_branch .LBB23_11
.LBB23_10:
	s_mov_b32 s2, -1
                                        ; implicit-def: $sgpr5
                                        ; implicit-def: $vgpr2
                                        ; implicit-def: $vgpr22
                                        ; implicit-def: $vgpr41
                                        ; implicit-def: $vgpr13
                                        ; implicit-def: $vgpr14
                                        ; implicit-def: $vgpr39
                                        ; implicit-def: $vgpr40
.LBB23_11:
	s_delay_alu instid0(SALU_CYCLE_1) | instskip(SKIP_2) | instid1(VALU_DEP_3)
	v_cndmask_b32_e64 v3, 0, 1, s2
	v_dual_mov_b32 v12, s5 :: v_dual_lshlrev_b32 v15, 2, v0
	v_dual_mov_b32 v38, s2 :: v_dual_mov_b32 v11, s5
	v_cmp_ne_u32_e32 vcc_lo, 1, v3
	v_dual_mov_b32 v20, s2 :: v_dual_mov_b32 v23, s2
	v_dual_mov_b32 v21, s2 :: v_dual_mov_b32 v18, s2
	v_mov_b32_e32 v17, s2
	s_cbranch_vccnz .LBB23_24
; %bb.12:
	s_clause 0x1
	s_load_b128 s[8:11], s[0:1], 0x98
	s_load_b64 s[16:17], s[0:1], 0x8c
	s_sub_i32 s2, 0, s33
	s_abs_i32 s13, s15
	s_mul_i32 s2, s2, s38
	s_ashr_i32 s23, s35, 31
	s_mul_hi_u32 s2, s38, s2
	s_ashr_i32 s35, s12, 31
	s_add_i32 s38, s38, s2
	v_lshrrev_b32_e32 v2, 3, v0
	s_mul_hi_u32 s27, s13, s38
	v_lshrrev_b32_e32 v3, 4, v0
	s_ashr_i32 s22, s15, 31
	s_ashr_i32 s26, s3, 1
	s_load_b64 s[2:3], s[0:1], 0xa8
	s_mul_i32 s38, s27, s33
	v_lshl_add_u32 v2, v4, 2, v2
	v_dual_mov_b32 v22, 32 :: v_dual_add_nc_u32 v3, v3, v6
	v_dual_mov_b32 v17, 0 :: v_dual_and_b32 v14, 28, v15
	s_waitcnt lgkmcnt(0)
	s_ashr_i32 s5, s10, 2
	s_ashr_i32 s10, s16, 2
	s_mul_i32 s9, s12, s9
	s_mul_hi_u32 s16, s12, s8
	s_mul_i32 s39, s35, s8
	s_add_i32 s9, s16, s9
	s_mul_i32 s8, s12, s8
	s_add_i32 s9, s9, s39
	s_add_u32 s16, s18, s8
	s_addc_u32 s18, s19, s9
	s_sub_i32 s8, s13, s38
	s_xor_b32 s9, s22, s23
	s_add_i32 s13, s27, 1
	s_sub_i32 s19, s8, s33
	s_cmp_ge_u32 s8, s33
	v_mul_lo_u32 v8, s10, v2
	s_cselect_b32 s13, s13, s27
	s_cselect_b32 s8, s19, s8
	v_mul_lo_u32 v12, s5, v3
	s_add_i32 s19, s13, 1
	s_cmp_ge_u32 s8, s33
	s_load_b32 s8, s[0:1], 0x54
	s_cselect_b32 s13, s19, s13
	v_dual_mov_b32 v36, 0xfeffffff :: v_dual_lshlrev_b32 v9, 2, v14
	v_and_b32_e32 v18, 60, v15
	s_xor_b32 s13, s13, s9
	v_lshl_add_u32 v10, s10, 4, v8
	s_sub_i32 s19, s13, s9
	v_lshl_add_u32 v20, s5, 3, v12
	v_mad_u32_u24 v24, 0x90, v2, v9
	v_dual_mov_b32 v37, 0xfeffffff :: v_dual_lshlrev_b32 v2, 2, v18
	s_mul_i32 s9, s19, s17
	s_mul_i32 s3, s12, s3
	s_mul_hi_u32 s22, s12, s2
	s_ashr_i32 s13, s9, 31
	s_add_u32 s9, s16, s9
	v_ashrrev_i32_e32 v9, 31, v8
	v_ashrrev_i32_e32 v11, 31, v10
	v_lshl_add_u32 v28, v4, 7, 0x1e00
	v_ashrrev_i32_e32 v13, 31, v12
	v_ashrrev_i32_e32 v21, 31, v20
	s_mul_i32 s35, s35, s2
	s_addc_u32 s13, s18, s13
	s_add_i32 s3, s22, s3
	v_lshl_or_b32 v29, v3, 8, v2
	s_mul_i32 s2, s12, s2
	s_add_i32 s3, s3, s35
	s_mul_i32 s19, s19, s11
	v_mad_u64_u32 v[2:3], null, v5, s26, v[0:1]
	s_add_u32 s2, s20, s2
	s_addc_u32 s3, s21, s3
	s_ashr_i32 s16, s19, 31
	v_mul_u32_u24_e32 v27, 0x300, v4
	v_lshl_add_u32 v30, v7, 1, v28
	v_dual_mov_b32 v23, 0 :: v_dual_lshlrev_b32 v32, 2, v7
	v_lshlrev_b64 v[3:4], 2, v[8:9]
	v_lshlrev_b64 v[5:6], 2, v[10:11]
	;; [unrolled: 1-line block ×4, first 2 shown]
	s_add_u32 s11, s2, s19
	v_add_nc_u32_e32 v25, 0x900, v24
	v_mul_u32_u24_e32 v26, 0x90, v0
	v_dual_mov_b32 v20, 0 :: v_dual_add_nc_u32 v31, 0x800, v29
	v_lshlrev_b32_e32 v33, 2, v14
	v_dual_mov_b32 v21, 0 :: v_dual_lshlrev_b32 v34, 2, v18
	v_dual_mov_b32 v35, 0 :: v_dual_mov_b32 v18, 0
	s_addc_u32 s16, s3, s16
	s_add_u32 s2, s0, 0xd0
	s_addc_u32 s3, s1, 0
	s_mov_b32 s17, 0xbbbac73d
.LBB23_13:                              ; =>This Inner Loop Header: Depth=1
	s_mul_hi_i32 s19, s4, s10
	s_mul_i32 s18, s4, s10
	s_delay_alu instid0(SALU_CYCLE_1) | instskip(NEXT) | instid1(SALU_CYCLE_1)
	s_lshl_b64 s[18:19], s[18:19], 2
	s_add_u32 s18, s9, s18
	s_addc_u32 s19, s13, s19
	v_add_co_u32 v11, vcc_lo, s18, v3
	v_add_co_ci_u32_e32 v12, vcc_lo, s19, v4, vcc_lo
	v_add_co_u32 v13, vcc_lo, s18, v5
	v_add_co_ci_u32_e32 v14, vcc_lo, s19, v6, vcc_lo
	s_delay_alu instid0(VALU_DEP_4) | instskip(NEXT) | instid1(VALU_DEP_4)
	v_add_co_u32 v11, vcc_lo, v11, v33
	v_add_co_ci_u32_e32 v12, vcc_lo, 0, v12, vcc_lo
	s_delay_alu instid0(VALU_DEP_4) | instskip(NEXT) | instid1(VALU_DEP_4)
	v_add_co_u32 v13, vcc_lo, v13, v33
	v_add_co_ci_u32_e32 v14, vcc_lo, 0, v14, vcc_lo
	s_clause 0x1
	global_load_b128 v[38:41], v[11:12], off
	global_load_b128 v[42:45], v[13:14], off
	s_waitcnt vmcnt(1)
	ds_store_b128 v24, v[38:41]
	s_waitcnt vmcnt(0)
	ds_store_b128 v25, v[42:45]
	s_waitcnt lgkmcnt(0)
	s_barrier
	buffer_gl0_inv
	ds_load_b128 v[40:43], v26
	ds_load_b128 v[44:47], v27 offset:4608
	ds_load_b128 v[48:51], v27 offset:4992
	v_dual_mov_b32 v39, 0 :: v_dual_mov_b32 v38, 0
	s_waitcnt lgkmcnt(1)
	;;#ASMSTART
	v_dot2_f32_f16 v39, v40, v44, v39
	;;#ASMEND
	;;#ASMSTART
	v_dot2_f32_f16 v39, v41, v45, v39
	;;#ASMEND
	;;#ASMSTART
	v_dot2_f32_f16 v39, v42, v46, v39
	;;#ASMEND
	;;#ASMSTART
	v_dot2_f32_f16 v39, v43, v47, v39
	;;#ASMEND
	s_waitcnt lgkmcnt(0)
	;;#ASMSTART
	v_dot2_f32_f16 v38, v40, v48, v38
	;;#ASMEND
	;;#ASMSTART
	v_dot2_f32_f16 v38, v41, v49, v38
	;;#ASMEND
	;;#ASMSTART
	v_dot2_f32_f16 v38, v42, v50, v38
	;;#ASMEND
	;;#ASMSTART
	v_dot2_f32_f16 v38, v43, v51, v38
	;;#ASMEND
	ds_load_b128 v[40:43], v26 offset:16
	ds_load_b128 v[44:47], v27 offset:4624
	ds_load_b128 v[48:51], v27 offset:5008
	s_waitcnt lgkmcnt(1)
	;;#ASMSTART
	v_dot2_f32_f16 v39, v40, v44, v39
	;;#ASMEND
	;;#ASMSTART
	v_dot2_f32_f16 v39, v41, v45, v39
	;;#ASMEND
	;;#ASMSTART
	v_dot2_f32_f16 v39, v42, v46, v39
	;;#ASMEND
	;;#ASMSTART
	v_dot2_f32_f16 v39, v43, v47, v39
	;;#ASMEND
	s_waitcnt lgkmcnt(0)
	;;#ASMSTART
	v_dot2_f32_f16 v38, v40, v48, v38
	;;#ASMEND
	;;#ASMSTART
	v_dot2_f32_f16 v38, v41, v49, v38
	;;#ASMEND
	;;#ASMSTART
	v_dot2_f32_f16 v38, v42, v50, v38
	;;#ASMEND
	;;#ASMSTART
	v_dot2_f32_f16 v38, v43, v51, v38
	;;#ASMEND
	ds_load_b128 v[40:43], v26 offset:32
	ds_load_b128 v[44:47], v27 offset:4640
	ds_load_b128 v[48:51], v27 offset:5024
	;; [unrolled: 29-line block ×7, first 2 shown]
	s_waitcnt lgkmcnt(1)
	;;#ASMSTART
	v_dot2_f32_f16 v39, v40, v44, v39
	;;#ASMEND
	;;#ASMSTART
	v_dot2_f32_f16 v39, v41, v45, v39
	;;#ASMEND
	;; [unrolled: 3-line block ×4, first 2 shown]
	s_waitcnt lgkmcnt(0)
	;;#ASMSTART
	v_dot2_f32_f16 v38, v40, v48, v38
	;;#ASMEND
	;;#ASMSTART
	v_dot2_f32_f16 v38, v41, v49, v38
	;;#ASMEND
	;;#ASMSTART
	v_dot2_f32_f16 v38, v42, v50, v38
	;;#ASMEND
	;;#ASMSTART
	v_dot2_f32_f16 v38, v43, v51, v38
	;;#ASMEND
	s_barrier
	buffer_gl0_inv
	s_clause 0x1
	global_load_b128 v[40:43], v[11:12], off offset:128
	global_load_b128 v[44:47], v[13:14], off offset:128
	s_waitcnt vmcnt(1)
	ds_store_b128 v24, v[40:43]
	s_waitcnt vmcnt(0)
	ds_store_b128 v25, v[44:47]
	s_waitcnt lgkmcnt(0)
	s_barrier
	buffer_gl0_inv
	ds_load_b128 v[40:43], v26
	ds_load_b128 v[44:47], v27 offset:4736
	ds_load_b128 v[48:51], v27 offset:5120
	s_waitcnt lgkmcnt(1)
	;;#ASMSTART
	v_dot2_f32_f16 v39, v40, v44, v39
	;;#ASMEND
	;;#ASMSTART
	v_dot2_f32_f16 v39, v41, v45, v39
	;;#ASMEND
	;;#ASMSTART
	v_dot2_f32_f16 v39, v42, v46, v39
	;;#ASMEND
	;;#ASMSTART
	v_dot2_f32_f16 v39, v43, v47, v39
	;;#ASMEND
	s_waitcnt lgkmcnt(0)
	;;#ASMSTART
	v_dot2_f32_f16 v38, v40, v48, v38
	;;#ASMEND
	;;#ASMSTART
	v_dot2_f32_f16 v38, v41, v49, v38
	;;#ASMEND
	;;#ASMSTART
	v_dot2_f32_f16 v38, v42, v50, v38
	;;#ASMEND
	;;#ASMSTART
	v_dot2_f32_f16 v38, v43, v51, v38
	;;#ASMEND
	ds_load_b128 v[40:43], v26 offset:16
	ds_load_b128 v[44:47], v27 offset:4752
	ds_load_b128 v[48:51], v27 offset:5136
	s_waitcnt lgkmcnt(1)
	;;#ASMSTART
	v_dot2_f32_f16 v39, v40, v44, v39
	;;#ASMEND
	;;#ASMSTART
	v_dot2_f32_f16 v39, v41, v45, v39
	;;#ASMEND
	;;#ASMSTART
	v_dot2_f32_f16 v39, v42, v46, v39
	;;#ASMEND
	;;#ASMSTART
	v_dot2_f32_f16 v39, v43, v47, v39
	;;#ASMEND
	s_waitcnt lgkmcnt(0)
	;;#ASMSTART
	v_dot2_f32_f16 v38, v40, v48, v38
	;;#ASMEND
	;;#ASMSTART
	v_dot2_f32_f16 v38, v41, v49, v38
	;;#ASMEND
	;;#ASMSTART
	v_dot2_f32_f16 v38, v42, v50, v38
	;;#ASMEND
	;;#ASMSTART
	v_dot2_f32_f16 v38, v43, v51, v38
	;;#ASMEND
	ds_load_b128 v[40:43], v26 offset:32
	;; [unrolled: 29-line block ×7, first 2 shown]
	ds_load_b128 v[44:47], v27 offset:4848
	ds_load_b128 v[48:51], v27 offset:5232
	s_waitcnt lgkmcnt(1)
	;;#ASMSTART
	v_dot2_f32_f16 v39, v40, v44, v39
	;;#ASMEND
	;;#ASMSTART
	v_dot2_f32_f16 v39, v41, v45, v39
	;;#ASMEND
	;; [unrolled: 3-line block ×4, first 2 shown]
	s_waitcnt lgkmcnt(0)
	;;#ASMSTART
	v_dot2_f32_f16 v38, v40, v48, v38
	;;#ASMEND
	;;#ASMSTART
	v_dot2_f32_f16 v38, v41, v49, v38
	;;#ASMEND
	;; [unrolled: 3-line block ×4, first 2 shown]
	s_barrier
	buffer_gl0_inv
	s_clause 0x1
	global_load_b128 v[40:43], v[11:12], off offset:256
	global_load_b128 v[11:14], v[13:14], off offset:256
	v_add_nc_u32_e32 v48, s4, v2
	s_waitcnt vmcnt(1)
	ds_store_b128 v24, v[40:43]
	s_waitcnt vmcnt(0)
	ds_store_b128 v25, v[11:14]
	s_waitcnt lgkmcnt(0)
	s_barrier
	buffer_gl0_inv
	ds_load_b128 v[11:14], v26
	ds_load_b128 v[40:43], v27 offset:4864
	ds_load_b128 v[44:47], v27 offset:5248
	s_waitcnt lgkmcnt(1)
	;;#ASMSTART
	v_dot2_f32_f16 v39, v11, v40, v39
	;;#ASMEND
	;;#ASMSTART
	v_dot2_f32_f16 v39, v12, v41, v39
	;;#ASMEND
	;;#ASMSTART
	v_dot2_f32_f16 v39, v13, v42, v39
	;;#ASMEND
	;;#ASMSTART
	v_dot2_f32_f16 v39, v14, v43, v39
	;;#ASMEND
	s_waitcnt lgkmcnt(0)
	;;#ASMSTART
	v_dot2_f32_f16 v38, v11, v44, v38
	;;#ASMEND
	;;#ASMSTART
	v_dot2_f32_f16 v38, v12, v45, v38
	;;#ASMEND
	;;#ASMSTART
	v_dot2_f32_f16 v38, v13, v46, v38
	;;#ASMEND
	;;#ASMSTART
	v_dot2_f32_f16 v38, v14, v47, v38
	;;#ASMEND
	ds_load_b128 v[11:14], v26 offset:16
	ds_load_b128 v[40:43], v27 offset:4880
	ds_load_b128 v[44:47], v27 offset:5264
	s_waitcnt lgkmcnt(1)
	;;#ASMSTART
	v_dot2_f32_f16 v39, v11, v40, v39
	;;#ASMEND
	;;#ASMSTART
	v_dot2_f32_f16 v39, v12, v41, v39
	;;#ASMEND
	;;#ASMSTART
	v_dot2_f32_f16 v39, v13, v42, v39
	;;#ASMEND
	;;#ASMSTART
	v_dot2_f32_f16 v39, v14, v43, v39
	;;#ASMEND
	s_waitcnt lgkmcnt(0)
	;;#ASMSTART
	v_dot2_f32_f16 v38, v11, v44, v38
	;;#ASMEND
	;;#ASMSTART
	v_dot2_f32_f16 v38, v12, v45, v38
	;;#ASMEND
	;;#ASMSTART
	v_dot2_f32_f16 v38, v13, v46, v38
	;;#ASMEND
	;;#ASMSTART
	v_dot2_f32_f16 v38, v14, v47, v38
	;;#ASMEND
	ds_load_b128 v[11:14], v26 offset:32
	;; [unrolled: 29-line block ×7, first 2 shown]
	ds_load_b128 v[40:43], v27 offset:4976
	v_ashrrev_i32_e32 v49, 31, v48
	ds_load_b128 v[44:47], v27 offset:5360
	s_waitcnt lgkmcnt(1)
	;;#ASMSTART
	v_dot2_f32_f16 v39, v11, v40, v39
	;;#ASMEND
	v_lshlrev_b64 v[48:49], 1, v[48:49]
	;;#ASMSTART
	v_dot2_f32_f16 v39, v12, v41, v39
	;;#ASMEND
	;;#ASMSTART
	v_dot2_f32_f16 v39, v13, v42, v39
	;;#ASMEND
	;; [unrolled: 3-line block ×3, first 2 shown]
	s_waitcnt lgkmcnt(0)
	;;#ASMSTART
	v_dot2_f32_f16 v38, v11, v44, v38
	;;#ASMEND
	;;#ASMSTART
	v_dot2_f32_f16 v38, v12, v45, v38
	;;#ASMEND
	v_add_co_u32 v48, vcc_lo, s36, v48
	v_add_co_ci_u32_e32 v49, vcc_lo, s37, v49, vcc_lo
	;;#ASMSTART
	v_dot2_f32_f16 v38, v13, v46, v38
	;;#ASMEND
	;;#ASMSTART
	v_dot2_f32_f16 v38, v14, v47, v38
	;;#ASMEND
	v_cmp_ngt_f32_e64 s18, 0x3f200000, |v39|
	flat_load_u16 v11, v[48:49]
                                        ; implicit-def: $vgpr12
	s_and_saveexec_b32 s19, s18
	s_delay_alu instid0(SALU_CYCLE_1)
	s_xor_b32 s18, exec_lo, s19
	s_cbranch_execz .LBB23_15
; %bb.14:                               ;   in Loop: Header=BB23_13 Depth=1
	v_add_f32_e64 v12, |v39|, |v39|
	s_delay_alu instid0(VALU_DEP_1) | instskip(SKIP_1) | instid1(VALU_DEP_2)
	v_mul_f32_e32 v13, 0x3fb8aa3b, v12
	v_cmp_ngt_f32_e32 vcc_lo, 0xc2ce8ed0, v12
	v_rndne_f32_e32 v14, v13
	v_fma_f32 v40, 0x3fb8aa3b, v12, -v13
	s_delay_alu instid0(VALU_DEP_1) | instskip(SKIP_1) | instid1(VALU_DEP_2)
	v_dual_sub_f32 v13, v13, v14 :: v_dual_fmac_f32 v40, 0x32a5705f, v12
	v_cvt_i32_f32_e32 v14, v14
	v_add_f32_e32 v13, v13, v40
	s_delay_alu instid0(VALU_DEP_1) | instskip(SKIP_2) | instid1(VALU_DEP_1)
	v_exp_f32_e32 v13, v13
	s_waitcnt_depctr 0xfff
	v_ldexp_f32 v13, v13, v14
	v_cndmask_b32_e32 v13, 0, v13, vcc_lo
	v_cmp_nlt_f32_e32 vcc_lo, 0x42b17218, v12
	s_delay_alu instid0(VALU_DEP_2) | instskip(NEXT) | instid1(VALU_DEP_1)
	v_cndmask_b32_e32 v12, 0x7f800000, v13, vcc_lo
	v_add_f32_e32 v12, 1.0, v12
	s_delay_alu instid0(VALU_DEP_1)
	v_rcp_f32_e32 v12, v12
	s_waitcnt_depctr 0xfff
	v_fma_f32 v12, v12, -2.0, 1.0
.LBB23_15:                              ;   in Loop: Header=BB23_13 Depth=1
	s_and_not1_saveexec_b32 s18, s18
; %bb.16:                               ;   in Loop: Header=BB23_13 Depth=1
	v_mul_f32_e32 v12, v39, v39
	s_delay_alu instid0(VALU_DEP_1) | instskip(NEXT) | instid1(VALU_DEP_1)
	v_fmaak_f32 v13, s17, v12, 0x3ca908c9
	v_fmaak_f32 v13, v12, v13, 0xbd5c1c4e
	s_delay_alu instid0(VALU_DEP_1) | instskip(NEXT) | instid1(VALU_DEP_1)
	v_fmaak_f32 v13, v12, v13, 0x3e088382
	v_fmaak_f32 v13, v12, v13, 0xbeaaaa99
	s_delay_alu instid0(VALU_DEP_1) | instskip(NEXT) | instid1(VALU_DEP_1)
	v_mul_f32_e64 v13, |v39|, v13
	v_fma_f32 v12, v12, v13, |v39|
; %bb.17:                               ;   in Loop: Header=BB23_13 Depth=1
	s_or_b32 exec_lo, exec_lo, s18
	s_delay_alu instid0(VALU_DEP_1)
	v_bfi_b32 v12, 0x7fffffff, v12, v39
	v_xor_b32_e32 v41, 16, v19
	v_max_f32_e32 v14, v36, v36
	v_cmp_ngt_f32_e64 s18, 0x3f200000, |v38|
	s_waitcnt vmcnt(0) lgkmcnt(0)
	v_fma_mix_f32 v42, v12, s8, v11 op_sel_hi:[0,0,1]
	v_cmp_gt_i32_e32 vcc_lo, 32, v41
	s_delay_alu instid0(VALU_DEP_2) | instskip(NEXT) | instid1(VALU_DEP_1)
	v_dual_add_f32 v13, 0x40051340, v42 :: v_dual_cndmask_b32 v12, v19, v41
	v_max_f32_e32 v14, v14, v13
	v_xor_b32_e32 v13, 8, v19
	s_delay_alu instid0(VALU_DEP_1) | instskip(SKIP_1) | instid1(VALU_DEP_1)
	v_cmp_gt_i32_e32 vcc_lo, 32, v13
	v_cndmask_b32_e32 v40, v19, v13, vcc_lo
	v_lshlrev_b32_e32 v43, 2, v40
	v_lshlrev_b32_e32 v12, 2, v12
	ds_bpermute_b32 v39, v12, v14
	s_waitcnt lgkmcnt(0)
	v_max_f32_e32 v39, v39, v39
	s_delay_alu instid0(VALU_DEP_1) | instskip(SKIP_4) | instid1(VALU_DEP_1)
	v_max_f32_e32 v39, v14, v39
	v_xor_b32_e32 v14, 4, v19
	ds_bpermute_b32 v40, v43, v39
	v_cmp_gt_i32_e32 vcc_lo, 32, v14
	v_cndmask_b32_e32 v44, v19, v14, vcc_lo
	v_lshlrev_b32_e32 v44, 2, v44
	s_waitcnt lgkmcnt(0)
	v_max_f32_e32 v40, v40, v40
	s_delay_alu instid0(VALU_DEP_1)
	v_max_f32_e32 v40, v39, v40
	v_xor_b32_e32 v39, 2, v19
	ds_bpermute_b32 v45, v44, v40
	v_cmp_gt_i32_e32 vcc_lo, 32, v39
	s_waitcnt lgkmcnt(0)
	v_dual_cndmask_b32 v46, v19, v39 :: v_dual_max_f32 v47, v45, v45
	s_delay_alu instid0(VALU_DEP_1)
	v_dual_max_f32 v46, v40, v47 :: v_dual_lshlrev_b32 v45, 2, v46
	v_xor_b32_e32 v40, 1, v19
	ds_bpermute_b32 v47, v45, v46
	v_cmp_gt_i32_e32 vcc_lo, 32, v40
	v_cndmask_b32_e32 v48, v19, v40, vcc_lo
	s_waitcnt lgkmcnt(0)
	v_max_f32_e32 v49, v47, v47
	s_delay_alu instid0(VALU_DEP_1) | instskip(SKIP_2) | instid1(SALU_CYCLE_1)
	v_dual_max_f32 v46, v46, v49 :: v_dual_lshlrev_b32 v47, 2, v48
                                        ; implicit-def: $vgpr49
	ds_bpermute_b32 v48, v47, v46
	s_and_saveexec_b32 s19, s18
	s_xor_b32 s18, exec_lo, s19
	s_cbranch_execz .LBB23_19
; %bb.18:                               ;   in Loop: Header=BB23_13 Depth=1
	v_add_f32_e64 v49, |v38|, |v38|
	s_delay_alu instid0(VALU_DEP_1) | instskip(SKIP_1) | instid1(VALU_DEP_2)
	v_mul_f32_e32 v50, 0x3fb8aa3b, v49
	v_cmp_ngt_f32_e32 vcc_lo, 0xc2ce8ed0, v49
	v_rndne_f32_e32 v51, v50
	v_fma_f32 v52, 0x3fb8aa3b, v49, -v50
	s_delay_alu instid0(VALU_DEP_2) | instskip(NEXT) | instid1(VALU_DEP_2)
	v_sub_f32_e32 v50, v50, v51
	v_fmac_f32_e32 v52, 0x32a5705f, v49
	v_cvt_i32_f32_e32 v51, v51
	s_delay_alu instid0(VALU_DEP_2) | instskip(NEXT) | instid1(VALU_DEP_1)
	v_add_f32_e32 v50, v50, v52
	v_exp_f32_e32 v50, v50
	s_waitcnt_depctr 0xfff
	v_ldexp_f32 v50, v50, v51
	s_delay_alu instid0(VALU_DEP_1) | instskip(SKIP_1) | instid1(VALU_DEP_2)
	v_cndmask_b32_e32 v50, 0, v50, vcc_lo
	v_cmp_nlt_f32_e32 vcc_lo, 0x42b17218, v49
	v_cndmask_b32_e32 v49, 0x7f800000, v50, vcc_lo
	s_delay_alu instid0(VALU_DEP_1) | instskip(NEXT) | instid1(VALU_DEP_1)
	v_add_f32_e32 v49, 1.0, v49
	v_rcp_f32_e32 v49, v49
	s_waitcnt_depctr 0xfff
	v_fma_f32 v49, v49, -2.0, 1.0
.LBB23_19:                              ;   in Loop: Header=BB23_13 Depth=1
	s_and_not1_saveexec_b32 s18, s18
; %bb.20:                               ;   in Loop: Header=BB23_13 Depth=1
	v_mul_f32_e32 v49, v38, v38
	s_delay_alu instid0(VALU_DEP_1) | instskip(NEXT) | instid1(VALU_DEP_1)
	v_fmaak_f32 v50, s17, v49, 0x3ca908c9
	v_fmaak_f32 v50, v49, v50, 0xbd5c1c4e
	s_delay_alu instid0(VALU_DEP_1) | instskip(NEXT) | instid1(VALU_DEP_1)
	v_fmaak_f32 v50, v49, v50, 0x3e088382
	v_fmaak_f32 v50, v49, v50, 0xbeaaaa99
	s_delay_alu instid0(VALU_DEP_1) | instskip(NEXT) | instid1(VALU_DEP_1)
	v_mul_f32_e64 v50, |v38|, v50
	v_fma_f32 v49, v49, v50, |v38|
; %bb.21:                               ;   in Loop: Header=BB23_13 Depth=1
	s_or_b32 exec_lo, exec_lo, s18
	s_mul_hi_i32 s19, s4, s5
	s_mul_i32 s18, s4, s5
	s_waitcnt lgkmcnt(0)
	s_lshl_b64 s[18:19], s[18:19], 2
	s_barrier
	s_add_u32 s18, s11, s18
	s_addc_u32 s19, s16, s19
	v_add_co_u32 v50, vcc_lo, s18, v7
	v_add_co_ci_u32_e32 v51, vcc_lo, s19, v8, vcc_lo
	v_add_co_u32 v52, vcc_lo, s18, v9
	v_add_co_ci_u32_e32 v53, vcc_lo, s19, v10, vcc_lo
	s_delay_alu instid0(VALU_DEP_4) | instskip(NEXT) | instid1(VALU_DEP_4)
	v_add_co_u32 v50, vcc_lo, v50, v34
	v_add_co_ci_u32_e32 v51, vcc_lo, 0, v51, vcc_lo
	s_delay_alu instid0(VALU_DEP_4) | instskip(NEXT) | instid1(VALU_DEP_4)
	v_add_co_u32 v54, vcc_lo, v52, v34
	v_add_co_ci_u32_e32 v55, vcc_lo, 0, v53, vcc_lo
	buffer_gl0_inv
	s_clause 0x1
	global_load_b128 v[50:53], v[50:51], off
	global_load_b128 v[54:57], v[54:55], off
	v_cvt_f32_f16_e32 v58, v11
	v_bfi_b32 v11, 0x7fffffff, v49, v38
	s_or_b32 s18, s4, 16
	s_delay_alu instid0(SALU_CYCLE_1) | instskip(SKIP_1) | instid1(VALU_DEP_1)
	s_mul_hi_i32 s19, s18, s5
	s_mul_i32 s18, s18, s5
	v_dual_fmac_f32 v58, s8, v11 :: v_dual_max_f32 v11, v37, v37
	s_lshl_b64 s[18:19], s[18:19], 2
	s_delay_alu instid0(SALU_CYCLE_1) | instskip(NEXT) | instid1(VALU_DEP_1)
	s_add_u32 s18, s11, s18
	v_add_f32_e32 v38, 0x40051340, v58
	s_addc_u32 s19, s16, s19
	s_delay_alu instid0(VALU_DEP_1) | instskip(SKIP_3) | instid1(VALU_DEP_1)
	v_dual_max_f32 v11, v11, v38 :: v_dual_max_f32 v38, v48, v48
	ds_bpermute_b32 v12, v12, v11
	s_waitcnt lgkmcnt(0)
	v_max_f32_e32 v12, v12, v12
	v_max_f32_e32 v11, v11, v12
	ds_bpermute_b32 v12, v43, v11
	s_waitcnt lgkmcnt(0)
	v_dual_max_f32 v43, v46, v46 :: v_dual_max_f32 v12, v12, v12
	s_delay_alu instid0(VALU_DEP_1) | instskip(SKIP_3) | instid1(VALU_DEP_1)
	v_max_f32_e32 v11, v11, v12
	ds_bpermute_b32 v12, v44, v11
	s_waitcnt lgkmcnt(0)
	v_max_f32_e32 v12, v12, v12
	v_max_f32_e32 v11, v11, v12
	ds_bpermute_b32 v12, v45, v11
	s_waitcnt lgkmcnt(0)
	v_max_f32_e32 v12, v12, v12
	s_delay_alu instid0(VALU_DEP_1) | instskip(SKIP_4) | instid1(VALU_DEP_1)
	v_max_f32_e32 v12, v11, v12
	ds_bpermute_b32 v11, v47, v12
	s_waitcnt lgkmcnt(0)
	v_max_f32_e32 v44, v11, v11
	v_max_f32_e32 v11, v43, v38
	v_sub_f32_e32 v38, v42, v11
	s_delay_alu instid0(VALU_DEP_1) | instskip(NEXT) | instid1(VALU_DEP_1)
	v_dual_sub_f32 v36, v36, v11 :: v_dual_mul_f32 v43, 0x3fb8aa3b, v38
	v_mul_f32_e32 v101, 0x3fb8aa3b, v36
	s_delay_alu instid0(VALU_DEP_2) | instskip(SKIP_1) | instid1(VALU_DEP_3)
	v_fma_f32 v45, 0x3fb8aa3b, v38, -v43
	v_rndne_f32_e32 v46, v43
	v_fma_f32 v104, 0x3fb8aa3b, v36, -v101
	v_rndne_f32_e32 v105, v101
	v_add_nc_u32_e32 v98, 0x800, v32
	v_fmac_f32_e32 v45, 0x32a5705f, v38
	v_dual_sub_f32 v43, v43, v46 :: v_dual_max_f32 v12, v12, v44
	s_delay_alu instid0(VALU_DEP_4) | instskip(NEXT) | instid1(VALU_DEP_2)
	v_dual_fmac_f32 v104, 0x32a5705f, v36 :: v_dual_sub_f32 v101, v101, v105
	v_add_f32_e32 v43, v43, v45
	v_cvt_i32_f32_e32 v45, v46
	s_delay_alu instid0(VALU_DEP_4) | instskip(SKIP_3) | instid1(VALU_DEP_3)
	v_sub_f32_e32 v37, v37, v12
	v_cmp_ngt_f32_e32 vcc_lo, 0xc2ce8ed0, v38
	v_add_f32_e32 v101, v101, v104
	v_exp_f32_e32 v43, v43
	v_mul_f32_e32 v100, 0x3fb8aa3b, v37
	s_delay_alu instid0(VALU_DEP_2) | instskip(NEXT) | instid1(VALU_DEP_1)
	v_exp_f32_e32 v101, v101
	v_fma_f32 v102, 0x3fb8aa3b, v37, -v100
	v_rndne_f32_e32 v103, v100
	s_waitcnt_depctr 0xfff
	v_ldexp_f32 v43, v43, v45
	v_sub_f32_e32 v42, v58, v12
	v_fmac_f32_e32 v102, 0x32a5705f, v37
	v_sub_f32_e32 v100, v100, v103
	s_delay_alu instid0(VALU_DEP_3) | instskip(SKIP_1) | instid1(VALU_DEP_3)
	v_dual_cndmask_b32 v43, 0, v43 :: v_dual_mul_f32 v44, 0x3fb8aa3b, v42
	v_cmp_ngt_f32_e32 vcc_lo, 0xc2ce8ed0, v42
	v_add_f32_e32 v100, v100, v102
	v_cvt_i32_f32_e32 v102, v103
	v_cvt_i32_f32_e32 v103, v105
	v_fma_f32 v47, 0x3fb8aa3b, v42, -v44
	v_rndne_f32_e32 v48, v44
	v_exp_f32_e32 v100, v100
	s_delay_alu instid0(VALU_DEP_3) | instskip(NEXT) | instid1(VALU_DEP_2)
	v_ldexp_f32 v101, v101, v103
	v_dual_fmac_f32 v47, 0x32a5705f, v42 :: v_dual_sub_f32 v44, v44, v48
	v_cvt_i32_f32_e32 v46, v48
	s_delay_alu instid0(VALU_DEP_2)
	v_add_f32_e32 v44, v44, v47
	s_waitcnt_depctr 0xfff
	v_ldexp_f32 v100, v100, v102
	v_exp_f32_e32 v44, v44
	s_waitcnt_depctr 0xfff
	v_ldexp_f32 v44, v44, v46
	s_delay_alu instid0(VALU_DEP_1)
	v_cndmask_b32_e32 v44, 0, v44, vcc_lo
	v_add_co_u32 v45, vcc_lo, s18, v7
	v_add_co_ci_u32_e32 v46, vcc_lo, s19, v8, vcc_lo
	v_cmp_nlt_f32_e32 vcc_lo, 0x42b17218, v38
	v_cndmask_b32_e32 v99, 0x7f800000, v43, vcc_lo
	v_cmp_nlt_f32_e32 vcc_lo, 0x42b17218, v42
	v_cndmask_b32_e32 v38, 0x7f800000, v44, vcc_lo
	v_add_co_u32 v42, vcc_lo, s18, v9
	v_add_co_ci_u32_e32 v43, vcc_lo, s19, v10, vcc_lo
	v_cvt_f16_f32_e32 v44, v99
	s_delay_alu instid0(VALU_DEP_4) | instskip(SKIP_3) | instid1(VALU_DEP_4)
	v_cvt_f16_f32_e32 v47, v38
	v_add_co_u32 v90, vcc_lo, v45, v34
	v_add_co_ci_u32_e32 v91, vcc_lo, 0, v46, vcc_lo
	v_add_co_u32 v94, vcc_lo, v42, v34
	v_pack_b32_f16 v44, v44, v47
	v_add_co_ci_u32_e32 v95, vcc_lo, 0, v43, vcc_lo
	v_cmp_ngt_f32_e32 vcc_lo, 0xc2ce8ed0, v37
	ds_store_b32 v30, v44
	s_waitcnt vmcnt(1)
	ds_store_b128 v29, v[50:53]
	s_waitcnt vmcnt(0)
	ds_store_b128 v31, v[54:57]
	s_waitcnt lgkmcnt(0)
	s_barrier
	buffer_gl0_inv
	ds_load_2addr_b64 v[42:45], v32 offset1:32
	ds_load_b128 v[46:49], v28
	ds_load_b128 v[50:53], v28 offset:16
	ds_load_b128 v[54:57], v28 offset:32
	;; [unrolled: 1-line block ×3, first 2 shown]
	ds_load_2addr_b64 v[62:65], v32 offset0:64 offset1:96
	ds_load_2addr_b64 v[66:69], v32 offset0:128 offset1:160
	;; [unrolled: 1-line block ×3, first 2 shown]
	ds_load_2addr_b64 v[74:77], v98 offset1:32
	ds_load_2addr_b64 v[78:81], v98 offset0:64 offset1:96
	ds_load_2addr_b64 v[82:85], v98 offset0:128 offset1:160
	;; [unrolled: 1-line block ×3, first 2 shown]
	s_waitcnt lgkmcnt(0)
	s_barrier
	buffer_gl0_inv
	s_clause 0x1
	global_load_b128 v[90:93], v[90:91], off
	global_load_b128 v[94:97], v[94:95], off
	v_cndmask_b32_e32 v100, 0, v100, vcc_lo
	v_cmp_ngt_f32_e32 vcc_lo, 0xc2ce8ed0, v36
	s_waitcnt vmcnt(1)
	ds_store_b128 v29, v[90:93]
	s_waitcnt vmcnt(0)
	ds_store_b128 v31, v[94:97]
	v_cndmask_b32_e32 v101, 0, v101, vcc_lo
	v_cmp_nlt_f32_e32 vcc_lo, 0x42b17218, v37
	v_pk_mul_f16 v102, v42, v46 op_sel_hi:[1,0]
	v_pk_mul_f16 v42, v42, v46 op_sel:[0,1]
	v_pk_mul_f16 v103, v43, v46 op_sel_hi:[1,0]
	s_waitcnt lgkmcnt(0)
	v_cndmask_b32_e32 v37, 0x7f800000, v100, vcc_lo
	v_cmp_nlt_f32_e32 vcc_lo, 0x42b17218, v36
	s_barrier
	buffer_gl0_inv
	v_cvt_f16_f32_e32 v100, v37
	v_cndmask_b32_e32 v36, 0x7f800000, v101, vcc_lo
	v_fmac_f32_e32 v38, v35, v37
	s_delay_alu instid0(VALU_DEP_3) | instskip(NEXT) | instid1(VALU_DEP_3)
	v_pk_mul_f16 v17, v100, v17 op_sel_hi:[0,1]
	v_cvt_f16_f32_e32 v101, v36
	v_pk_fma_f16 v18, v18, v100, v42 op_sel_hi:[1,0,1]
	v_fma_f32 v23, v23, v36, v99
	s_delay_alu instid0(VALU_DEP_4) | instskip(NEXT) | instid1(VALU_DEP_4)
	v_pk_fma_f16 v17, v43, v46, v17 op_sel:[0,1,0]
	v_pk_fma_f16 v20, v101, v20, v102 op_sel_hi:[0,1,1]
	v_pk_fma_f16 v21, v101, v21, v103 op_sel_hi:[0,1,1]
	v_pk_fma_f16 v18, v44, v47, v18 op_sel:[0,1,0]
	s_delay_alu instid0(VALU_DEP_4) | instskip(NEXT) | instid1(VALU_DEP_4)
	v_pk_fma_f16 v17, v45, v47, v17 op_sel:[0,1,0]
	v_pk_fma_f16 v20, v44, v47, v20 op_sel_hi:[1,0,1]
	s_delay_alu instid0(VALU_DEP_4) | instskip(NEXT) | instid1(VALU_DEP_4)
	v_pk_fma_f16 v21, v45, v47, v21 op_sel_hi:[1,0,1]
	v_pk_fma_f16 v18, v62, v48, v18 op_sel:[0,1,0]
	s_delay_alu instid0(VALU_DEP_4) | instskip(NEXT) | instid1(VALU_DEP_4)
	v_pk_fma_f16 v17, v63, v48, v17 op_sel:[0,1,0]
	v_pk_fma_f16 v20, v62, v48, v20 op_sel_hi:[1,0,1]
	s_delay_alu instid0(VALU_DEP_4) | instskip(NEXT) | instid1(VALU_DEP_4)
	;; [unrolled: 6-line block ×3, first 2 shown]
	v_pk_fma_f16 v21, v65, v49, v21 op_sel_hi:[1,0,1]
	v_pk_fma_f16 v18, v66, v50, v18 op_sel:[0,1,0]
	ds_load_2addr_b64 v[42:45], v32 offset1:32
	ds_load_b128 v[46:49], v28 offset:64
	v_pk_fma_f16 v17, v67, v50, v17 op_sel:[0,1,0]
	v_pk_fma_f16 v20, v66, v50, v20 op_sel_hi:[1,0,1]
	v_pk_fma_f16 v21, v67, v50, v21 op_sel_hi:[1,0,1]
	v_pk_fma_f16 v18, v68, v51, v18 op_sel:[0,1,0]
	s_delay_alu instid0(VALU_DEP_4) | instskip(NEXT) | instid1(VALU_DEP_4)
	v_pk_fma_f16 v17, v69, v51, v17 op_sel:[0,1,0]
	v_pk_fma_f16 v20, v68, v51, v20 op_sel_hi:[1,0,1]
	s_delay_alu instid0(VALU_DEP_4) | instskip(NEXT) | instid1(VALU_DEP_4)
	v_pk_fma_f16 v21, v69, v51, v21 op_sel_hi:[1,0,1]
	v_pk_fma_f16 v18, v70, v52, v18 op_sel:[0,1,0]
	s_delay_alu instid0(VALU_DEP_4) | instskip(NEXT) | instid1(VALU_DEP_4)
	v_pk_fma_f16 v17, v71, v52, v17 op_sel:[0,1,0]
	v_pk_fma_f16 v20, v70, v52, v20 op_sel_hi:[1,0,1]
	s_delay_alu instid0(VALU_DEP_4) | instskip(NEXT) | instid1(VALU_DEP_4)
	;; [unrolled: 6-line block ×3, first 2 shown]
	v_pk_fma_f16 v21, v73, v53, v21 op_sel_hi:[1,0,1]
	v_pk_fma_f16 v18, v74, v54, v18 op_sel:[0,1,0]
	ds_load_2addr_b64 v[50:53], v32 offset0:64 offset1:96
	v_pk_fma_f16 v17, v75, v54, v17 op_sel:[0,1,0]
	v_pk_fma_f16 v20, v74, v54, v20 op_sel_hi:[1,0,1]
	v_pk_fma_f16 v21, v75, v54, v21 op_sel_hi:[1,0,1]
	v_pk_fma_f16 v18, v76, v55, v18 op_sel:[0,1,0]
	s_delay_alu instid0(VALU_DEP_4) | instskip(NEXT) | instid1(VALU_DEP_4)
	v_pk_fma_f16 v17, v77, v55, v17 op_sel:[0,1,0]
	v_pk_fma_f16 v20, v76, v55, v20 op_sel_hi:[1,0,1]
	s_delay_alu instid0(VALU_DEP_4) | instskip(NEXT) | instid1(VALU_DEP_4)
	v_pk_fma_f16 v21, v77, v55, v21 op_sel_hi:[1,0,1]
	v_pk_fma_f16 v18, v78, v56, v18 op_sel:[0,1,0]
	s_delay_alu instid0(VALU_DEP_4) | instskip(NEXT) | instid1(VALU_DEP_4)
	v_pk_fma_f16 v17, v79, v56, v17 op_sel:[0,1,0]
	v_pk_fma_f16 v20, v78, v56, v20 op_sel_hi:[1,0,1]
	s_delay_alu instid0(VALU_DEP_4) | instskip(NEXT) | instid1(VALU_DEP_4)
	;; [unrolled: 6-line block ×6, first 2 shown]
	v_pk_fma_f16 v21, v87, v60, v21 op_sel_hi:[1,0,1]
	v_pk_fma_f16 v18, v88, v61, v18 op_sel:[0,1,0]
	s_delay_alu instid0(VALU_DEP_4) | instskip(NEXT) | instid1(VALU_DEP_4)
	v_pk_fma_f16 v17, v89, v61, v17 op_sel:[0,1,0]
	v_pk_fma_f16 v20, v88, v61, v20 op_sel_hi:[1,0,1]
	s_delay_alu instid0(VALU_DEP_4)
	v_pk_fma_f16 v21, v89, v61, v21 op_sel_hi:[1,0,1]
	ds_load_b128 v[54:57], v28 offset:80
	ds_load_2addr_b64 v[58:61], v32 offset0:128 offset1:160
	s_waitcnt lgkmcnt(3)
	v_pk_fma_f16 v18, v42, v46, v18 op_sel:[0,1,0]
	v_pk_fma_f16 v17, v43, v46, v17 op_sel:[0,1,0]
	v_pk_fma_f16 v20, v42, v46, v20 op_sel_hi:[1,0,1]
	v_pk_fma_f16 v21, v43, v46, v21 op_sel_hi:[1,0,1]
	s_delay_alu instid0(VALU_DEP_4) | instskip(NEXT) | instid1(VALU_DEP_4)
	v_pk_fma_f16 v18, v44, v47, v18 op_sel:[0,1,0]
	v_pk_fma_f16 v17, v45, v47, v17 op_sel:[0,1,0]
	s_delay_alu instid0(VALU_DEP_4) | instskip(NEXT) | instid1(VALU_DEP_4)
	v_pk_fma_f16 v20, v44, v47, v20 op_sel_hi:[1,0,1]
	v_pk_fma_f16 v21, v45, v47, v21 op_sel_hi:[1,0,1]
	ds_load_2addr_b64 v[42:45], v32 offset0:192 offset1:224
	s_waitcnt lgkmcnt(3)
	v_pk_fma_f16 v18, v50, v48, v18 op_sel:[0,1,0]
	v_pk_fma_f16 v17, v51, v48, v17 op_sel:[0,1,0]
	v_pk_fma_f16 v20, v50, v48, v20 op_sel_hi:[1,0,1]
	v_pk_fma_f16 v21, v51, v48, v21 op_sel_hi:[1,0,1]
	ds_load_b128 v[62:65], v28 offset:96
	ds_load_b128 v[66:69], v28 offset:112
	v_pk_fma_f16 v18, v52, v49, v18 op_sel:[0,1,0]
	v_pk_fma_f16 v17, v53, v49, v17 op_sel:[0,1,0]
	v_pk_fma_f16 v20, v52, v49, v20 op_sel_hi:[1,0,1]
	v_pk_fma_f16 v21, v53, v49, v21 op_sel_hi:[1,0,1]
	ds_load_2addr_b64 v[46:49], v98 offset1:32
	s_waitcnt lgkmcnt(4)
	v_pk_fma_f16 v18, v58, v54, v18 op_sel:[0,1,0]
	v_pk_fma_f16 v17, v59, v54, v17 op_sel:[0,1,0]
	v_pk_fma_f16 v20, v58, v54, v20 op_sel_hi:[1,0,1]
	v_pk_fma_f16 v21, v59, v54, v21 op_sel_hi:[1,0,1]
	ds_load_2addr_b64 v[50:53], v98 offset0:64 offset1:96
	v_pk_fma_f16 v18, v60, v55, v18 op_sel:[0,1,0]
	v_pk_fma_f16 v17, v61, v55, v17 op_sel:[0,1,0]
	v_pk_fma_f16 v20, v60, v55, v20 op_sel_hi:[1,0,1]
	v_pk_fma_f16 v21, v61, v55, v21 op_sel_hi:[1,0,1]
	ds_load_2addr_b64 v[58:61], v98 offset0:128 offset1:160
	s_waitcnt lgkmcnt(5)
	v_pk_fma_f16 v18, v42, v56, v18 op_sel:[0,1,0]
	v_pk_fma_f16 v17, v43, v56, v17 op_sel:[0,1,0]
	v_pk_fma_f16 v20, v42, v56, v20 op_sel_hi:[1,0,1]
	v_pk_fma_f16 v21, v43, v56, v21 op_sel_hi:[1,0,1]
	ds_load_2addr_b64 v[70:73], v98 offset0:192 offset1:224
	v_pk_fma_f16 v18, v44, v57, v18 op_sel:[0,1,0]
	v_pk_fma_f16 v17, v45, v57, v17 op_sel:[0,1,0]
	v_pk_fma_f16 v20, v44, v57, v20 op_sel_hi:[1,0,1]
	v_pk_fma_f16 v21, v45, v57, v21 op_sel_hi:[1,0,1]
	s_waitcnt lgkmcnt(0)
	v_pk_fma_f16 v18, v46, v62, v18 op_sel:[0,1,0]
	v_pk_fma_f16 v17, v47, v62, v17 op_sel:[0,1,0]
	v_pk_fma_f16 v20, v46, v62, v20 op_sel_hi:[1,0,1]
	v_pk_fma_f16 v21, v47, v62, v21 op_sel_hi:[1,0,1]
	s_barrier
	v_pk_fma_f16 v18, v48, v63, v18 op_sel:[0,1,0]
	v_pk_fma_f16 v17, v49, v63, v17 op_sel:[0,1,0]
	v_pk_fma_f16 v20, v48, v63, v20 op_sel_hi:[1,0,1]
	v_pk_fma_f16 v21, v49, v63, v21 op_sel_hi:[1,0,1]
	buffer_gl0_inv
	v_pk_fma_f16 v18, v50, v64, v18 op_sel:[0,1,0]
	v_pk_fma_f16 v17, v51, v64, v17 op_sel:[0,1,0]
	v_pk_fma_f16 v20, v50, v64, v20 op_sel_hi:[1,0,1]
	v_pk_fma_f16 v21, v51, v64, v21 op_sel_hi:[1,0,1]
	s_load_b32 s18, s[2:3], 0x4
	v_pk_fma_f16 v18, v52, v65, v18 op_sel:[0,1,0]
	v_pk_fma_f16 v17, v53, v65, v17 op_sel:[0,1,0]
	v_pk_fma_f16 v20, v52, v65, v20 op_sel_hi:[1,0,1]
	v_pk_fma_f16 v21, v53, v65, v21 op_sel_hi:[1,0,1]
	s_delay_alu instid0(VALU_DEP_4) | instskip(NEXT) | instid1(VALU_DEP_4)
	v_pk_fma_f16 v18, v58, v66, v18 op_sel:[0,1,0]
	v_pk_fma_f16 v17, v59, v66, v17 op_sel:[0,1,0]
	s_delay_alu instid0(VALU_DEP_4) | instskip(NEXT) | instid1(VALU_DEP_4)
	v_pk_fma_f16 v20, v58, v66, v20 op_sel_hi:[1,0,1]
	v_pk_fma_f16 v21, v59, v66, v21 op_sel_hi:[1,0,1]
	s_delay_alu instid0(VALU_DEP_4) | instskip(NEXT) | instid1(VALU_DEP_4)
	v_pk_fma_f16 v18, v60, v67, v18 op_sel:[0,1,0]
	v_pk_fma_f16 v17, v61, v67, v17 op_sel:[0,1,0]
	s_delay_alu instid0(VALU_DEP_4) | instskip(NEXT) | instid1(VALU_DEP_4)
	v_pk_fma_f16 v20, v60, v67, v20 op_sel_hi:[1,0,1]
	v_pk_fma_f16 v21, v61, v67, v21 op_sel_hi:[1,0,1]
	s_delay_alu instid0(VALU_DEP_4) | instskip(NEXT) | instid1(VALU_DEP_4)
	v_pk_fma_f16 v18, v70, v68, v18 op_sel:[0,1,0]
	v_pk_fma_f16 v17, v71, v68, v17 op_sel:[0,1,0]
	s_delay_alu instid0(VALU_DEP_4) | instskip(NEXT) | instid1(VALU_DEP_4)
	v_pk_fma_f16 v20, v70, v68, v20 op_sel_hi:[1,0,1]
	v_pk_fma_f16 v21, v71, v68, v21 op_sel_hi:[1,0,1]
	s_waitcnt lgkmcnt(0)
	s_lshl_b32 s18, s18, 5
	v_pk_fma_f16 v18, v72, v69, v18 op_sel:[0,1,0]
	v_pk_fma_f16 v17, v73, v69, v17 op_sel:[0,1,0]
	v_pk_fma_f16 v20, v72, v69, v20 op_sel_hi:[1,0,1]
	v_pk_fma_f16 v21, v73, v69, v21 op_sel_hi:[1,0,1]
	s_add_i32 s4, s18, s4
	s_delay_alu instid0(SALU_CYCLE_1)
	s_cmp_ge_i32 s4, s34
	s_cbranch_scc1 .LBB23_23
; %bb.22:                               ;   in Loop: Header=BB23_13 Depth=1
	v_dual_mov_b32 v36, v11 :: v_dual_mov_b32 v37, v12
	v_mov_b32_e32 v35, v38
	s_branch .LBB23_13
.LBB23_23:
	v_mov_b32_e32 v2, v19
.LBB23_24:
	v_cmp_lt_i32_e32 vcc_lo, v41, v22
	s_cmp_lg_u64 s[24:25], 0
	s_cselect_b32 s2, -1, 0
	s_cmp_eq_u32 s14, 0
	v_cndmask_b32_e32 v3, v2, v41, vcc_lo
	v_cmp_lt_i32_e32 vcc_lo, v13, v22
	s_cselect_b32 s3, -1, 0
	s_delay_alu instid0(SALU_CYCLE_1) | instskip(NEXT) | instid1(VALU_DEP_2)
	s_and_b32 s2, s3, s2
	v_lshlrev_b32_e32 v3, 2, v3
	v_cndmask_b32_e32 v5, v2, v13, vcc_lo
	v_cmp_lt_i32_e32 vcc_lo, v14, v22
	ds_bpermute_b32 v4, v3, v23
	v_lshlrev_b32_e32 v5, 2, v5
	v_cndmask_b32_e32 v7, v2, v14, vcc_lo
	v_cmp_lt_i32_e32 vcc_lo, v39, v22
	s_waitcnt lgkmcnt(0)
	s_delay_alu instid0(VALU_DEP_2)
	v_dual_add_f32 v4, v23, v4 :: v_dual_lshlrev_b32 v7, 2, v7
	ds_bpermute_b32 v6, v5, v4
	s_waitcnt lgkmcnt(0)
	v_add_f32_e32 v4, v4, v6
	ds_bpermute_b32 v3, v3, v38
	s_waitcnt lgkmcnt(0)
	v_add_f32_e32 v3, v38, v3
	;; [unrolled: 3-line block ×3, first 2 shown]
	ds_bpermute_b32 v5, v7, v4
	ds_bpermute_b32 v6, v7, v3
	v_cndmask_b32_e32 v7, v2, v39, vcc_lo
	v_cmp_lt_i32_e32 vcc_lo, v40, v22
	s_delay_alu instid0(VALU_DEP_2) | instskip(SKIP_2) | instid1(VALU_DEP_1)
	v_dual_cndmask_b32 v2, v2, v40 :: v_dual_lshlrev_b32 v7, 2, v7
	s_and_b32 vcc_lo, exec_lo, s2
	s_mov_b32 s2, 0
	v_lshlrev_b32_e32 v2, 2, v2
	s_waitcnt lgkmcnt(0)
	v_dual_add_f32 v4, v4, v5 :: v_dual_add_f32 v3, v3, v6
	ds_bpermute_b32 v5, v7, v4
	ds_bpermute_b32 v6, v7, v3
	s_waitcnt lgkmcnt(0)
	v_dual_add_f32 v4, v4, v5 :: v_dual_add_f32 v3, v3, v6
	ds_bpermute_b32 v5, v2, v4
	ds_bpermute_b32 v6, v2, v3
	s_waitcnt lgkmcnt(0)
	v_dual_add_f32 v2, v4, v5 :: v_dual_add_f32 v3, v3, v6
	v_add_nc_u32_e32 v6, s15, v16
	s_cbranch_vccnz .LBB23_26
; %bb.25:
	s_delay_alu instid0(VALU_DEP_2) | instskip(NEXT) | instid1(VALU_DEP_3)
	v_mov_b32_e32 v5, v3
	v_dual_mov_b32 v4, v2 :: v_dual_add_nc_u32 v7, s15, v16
	s_and_not1_b32 vcc_lo, exec_lo, s2
	s_cbranch_vccz .LBB23_27
	s_branch .LBB23_28
.LBB23_26:
                                        ; implicit-def: $vgpr7
                                        ; implicit-def: $vgpr4_vgpr5
.LBB23_27:
	s_delay_alu instid0(VALU_DEP_1) | instskip(NEXT) | instid1(VALU_DEP_1)
	v_ashrrev_i32_e32 v7, 31, v6
	v_lshlrev_b64 v[4:5], 2, v[6:7]
	s_delay_alu instid0(VALU_DEP_1) | instskip(NEXT) | instid1(VALU_DEP_2)
	v_add_co_u32 v4, vcc_lo, s24, v4
	v_add_co_ci_u32_e32 v5, vcc_lo, s25, v5, vcc_lo
	global_load_b64 v[4:5], v[4:5], off
	v_max_f32_e32 v7, v11, v11
	s_waitcnt vmcnt(0)
	v_dual_max_f32 v9, v12, v12 :: v_dual_max_f32 v10, v5, v5
	s_delay_alu instid0(VALU_DEP_1) | instskip(NEXT) | instid1(VALU_DEP_1)
	v_dual_max_f32 v8, v4, v4 :: v_dual_max_f32 v9, v9, v10
	v_dual_max_f32 v8, v7, v8 :: v_dual_sub_f32 v5, v5, v9
	s_delay_alu instid0(VALU_DEP_1) | instskip(SKIP_1) | instid1(VALU_DEP_2)
	v_dual_sub_f32 v10, v11, v8 :: v_dual_sub_f32 v11, v12, v9
	v_sub_f32_e32 v4, v4, v8
	v_dual_mul_f32 v14, 0x3fb8aa3b, v5 :: v_dual_mul_f32 v7, 0x3fb8aa3b, v10
	s_delay_alu instid0(VALU_DEP_2) | instskip(SKIP_1) | instid1(VALU_DEP_3)
	v_dual_mul_f32 v13, 0x3fb8aa3b, v11 :: v_dual_mul_f32 v12, 0x3fb8aa3b, v4
	v_cmp_ngt_f32_e32 vcc_lo, 0xc2ce8ed0, v10
	v_fma_f32 v26, 0x3fb8aa3b, v5, -v14
	s_delay_alu instid0(VALU_DEP_4) | instskip(SKIP_4) | instid1(VALU_DEP_4)
	v_fma_f32 v16, 0x3fb8aa3b, v10, -v7
	v_rndne_f32_e32 v19, v7
	v_fma_f32 v22, 0x3fb8aa3b, v4, -v12
	v_rndne_f32_e32 v23, v12
	v_fma_f32 v24, 0x3fb8aa3b, v11, -v13
	v_dual_fmac_f32 v16, 0x32a5705f, v10 :: v_dual_sub_f32 v7, v7, v19
	v_rndne_f32_e32 v25, v13
	v_fmac_f32_e32 v22, 0x32a5705f, v4
	v_sub_f32_e32 v12, v12, v23
	s_delay_alu instid0(VALU_DEP_4) | instskip(NEXT) | instid1(VALU_DEP_4)
	v_dual_fmac_f32 v24, 0x32a5705f, v11 :: v_dual_add_f32 v7, v7, v16
	v_sub_f32_e32 v13, v13, v25
	v_cvt_i32_f32_e32 v19, v19
	s_delay_alu instid0(VALU_DEP_4)
	v_add_f32_e32 v12, v12, v22
	v_cvt_i32_f32_e32 v22, v23
	v_exp_f32_e32 v16, v7
	v_dual_mov_b32 v7, v6 :: v_dual_fmac_f32 v26, 0x32a5705f, v5
	v_add_f32_e32 v13, v13, v24
	v_exp_f32_e32 v12, v12
	v_rndne_f32_e32 v27, v14
	v_cvt_i32_f32_e32 v23, v25
	s_delay_alu instid0(VALU_DEP_3) | instskip(NEXT) | instid1(TRANS32_DEP_3)
	v_exp_f32_e32 v13, v13
	v_ldexp_f32 v6, v16, v19
	s_delay_alu instid0(VALU_DEP_3)
	v_cvt_i32_f32_e32 v24, v27
	s_waitcnt_depctr 0xfff
	v_ldexp_f32 v12, v12, v22
	v_cndmask_b32_e32 v6, 0, v6, vcc_lo
	v_cmp_ngt_f32_e32 vcc_lo, 0xc2ce8ed0, v4
	v_ldexp_f32 v13, v13, v23
	s_delay_alu instid0(VALU_DEP_4) | instskip(SKIP_1) | instid1(VALU_DEP_3)
	v_cndmask_b32_e32 v12, 0, v12, vcc_lo
	v_cmp_ngt_f32_e32 vcc_lo, 0xc2ce8ed0, v11
	v_dual_sub_f32 v14, v14, v27 :: v_dual_cndmask_b32 v13, 0, v13
	s_delay_alu instid0(VALU_DEP_1) | instskip(SKIP_1) | instid1(VALU_DEP_2)
	v_add_f32_e32 v14, v14, v26
	v_cmp_ngt_f32_e32 vcc_lo, 0xc2ce8ed0, v5
	v_exp_f32_e32 v14, v14
	s_waitcnt_depctr 0xfff
	v_ldexp_f32 v14, v14, v24
	s_delay_alu instid0(VALU_DEP_1)
	v_cndmask_b32_e32 v14, 0, v14, vcc_lo
	v_cmp_nlt_f32_e32 vcc_lo, 0x42b17218, v10
	v_cndmask_b32_e32 v6, 0x7f800000, v6, vcc_lo
	v_cmp_nlt_f32_e32 vcc_lo, 0x42b17218, v4
	;; [unrolled: 2-line block ×3, first 2 shown]
	v_dual_mov_b32 v12, v9 :: v_dual_mov_b32 v11, v8
	s_delay_alu instid0(VALU_DEP_3) | instskip(SKIP_3) | instid1(VALU_DEP_4)
	v_fmac_f32_e32 v4, v2, v6
	v_cndmask_b32_e32 v10, 0x7f800000, v13, vcc_lo
	v_cmp_nlt_f32_e32 vcc_lo, 0x42b17218, v5
	v_cvt_f16_f32_e32 v13, v6
	v_mov_b32_e32 v2, v4
	s_delay_alu instid0(VALU_DEP_4) | instskip(SKIP_1) | instid1(VALU_DEP_4)
	v_cvt_f16_f32_e32 v8, v10
	v_cndmask_b32_e32 v5, 0x7f800000, v14, vcc_lo
	v_pk_mul_f16 v20, v13, v20 op_sel_hi:[0,1]
	v_pk_mul_f16 v21, v13, v21 op_sel_hi:[0,1]
	s_delay_alu instid0(VALU_DEP_4) | instskip(NEXT) | instid1(VALU_DEP_4)
	v_pk_mul_f16 v18, v8, v18 op_sel_hi:[0,1]
	v_fmac_f32_e32 v5, v3, v10
	v_pk_mul_f16 v17, v8, v17 op_sel_hi:[0,1]
	s_delay_alu instid0(VALU_DEP_2)
	v_mov_b32_e32 v3, v5
.LBB23_28:
	s_load_b32 s1, s[0:1], 0xd4
	v_mov_b32_e32 v6, 1.0
	s_waitcnt lgkmcnt(0)
	s_cmp_lg_u32 s1, 1
	s_cselect_b32 s3, -1, 0
	s_cmp_eq_u32 s1, 1
	s_cselect_b32 s2, -1, 0
	s_and_b32 vcc_lo, exec_lo, s3
	s_cbranch_vccnz .LBB23_30
; %bb.29:
	v_div_scale_f32 v6, null, v2, v2, 1.0
	s_delay_alu instid0(VALU_DEP_1) | instskip(SKIP_2) | instid1(VALU_DEP_1)
	v_rcp_f32_e32 v8, v6
	s_waitcnt_depctr 0xfff
	v_fma_f32 v9, -v6, v8, 1.0
	v_fmac_f32_e32 v8, v9, v8
	v_div_scale_f32 v9, vcc_lo, 1.0, v2, 1.0
	s_delay_alu instid0(VALU_DEP_1) | instskip(NEXT) | instid1(VALU_DEP_1)
	v_mul_f32_e32 v10, v9, v8
	v_fma_f32 v13, -v6, v10, v9
	s_delay_alu instid0(VALU_DEP_1) | instskip(NEXT) | instid1(VALU_DEP_1)
	v_fmac_f32_e32 v10, v13, v8
	v_fma_f32 v6, -v6, v10, v9
	s_delay_alu instid0(VALU_DEP_1) | instskip(NEXT) | instid1(VALU_DEP_1)
	v_div_fmas_f32 v6, v6, v8, v10
	v_div_fixup_f32 v6, v6, v2, 1.0
.LBB23_30:
	v_mad_u64_u32 v[8:9], null, s12, s6, v[1:2]
	v_cmp_eq_u32_e32 vcc_lo, 0, v0
	v_lshrrev_b32_e32 v0, 16, v20
	s_delay_alu instid0(VALU_DEP_1) | instskip(NEXT) | instid1(VALU_DEP_4)
	v_cvt_f32_f16_e32 v0, v0
	v_mad_u64_u32 v[9:10], null, v8, s7, v[7:8]
	v_cvt_f32_f16_e32 v10, v21
	s_delay_alu instid0(VALU_DEP_2) | instskip(SKIP_3) | instid1(VALU_DEP_4)
	v_mad_u64_u32 v[1:2], null, s1, v9, s[14:15]
	v_cvt_f32_f16_e32 v9, v20
	v_mov_b32_e32 v8, 0
	v_lshrrev_b32_e32 v2, 16, v21
	v_lshl_add_u32 v7, v1, 7, v15
	s_delay_alu instid0(VALU_DEP_2) | instskip(NEXT) | instid1(VALU_DEP_2)
	v_cvt_f32_f16_e32 v2, v2
	v_lshlrev_b64 v[13:14], 2, v[7:8]
	v_mul_f32_e32 v7, v6, v9
	v_mul_f32_e32 v9, v6, v10
	v_mul_f32_e32 v8, v6, v0
	v_mul_f32_e32 v10, v6, v2
	v_add_co_u32 v13, s0, s28, v13
	s_delay_alu instid0(VALU_DEP_1)
	v_add_co_ci_u32_e64 v14, s0, s29, v14, s0
	s_and_b32 s0, vcc_lo, s3
	global_store_b128 v[13:14], v[7:10], off
	s_and_saveexec_b32 s3, s0
	s_cbranch_execz .LBB23_32
; %bb.31:
	v_ashrrev_i32_e32 v2, 31, v1
	v_dual_mov_b32 v8, v11 :: v_dual_mov_b32 v9, v4
	s_delay_alu instid0(VALU_DEP_2) | instskip(NEXT) | instid1(VALU_DEP_1)
	v_lshlrev_b64 v[6:7], 3, v[1:2]
	v_add_co_u32 v6, vcc_lo, s30, v6
	s_delay_alu instid0(VALU_DEP_2)
	v_add_co_ci_u32_e32 v7, vcc_lo, s31, v7, vcc_lo
	global_store_b64 v[6:7], v[8:9], off
.LBB23_32:
	s_or_b32 exec_lo, exec_lo, s3
	v_mov_b32_e32 v2, 1.0
	s_and_not1_b32 vcc_lo, exec_lo, s2
	s_cbranch_vccnz .LBB23_34
; %bb.33:
	v_div_scale_f32 v0, null, v3, v3, 1.0
	s_delay_alu instid0(VALU_DEP_1) | instskip(SKIP_2) | instid1(VALU_DEP_1)
	v_rcp_f32_e32 v2, v0
	s_waitcnt_depctr 0xfff
	v_fma_f32 v4, -v0, v2, 1.0
	v_fmac_f32_e32 v2, v4, v2
	v_div_scale_f32 v4, vcc_lo, 1.0, v3, 1.0
	s_delay_alu instid0(VALU_DEP_1) | instskip(NEXT) | instid1(VALU_DEP_1)
	v_mul_f32_e32 v6, v4, v2
	v_fma_f32 v7, -v0, v6, v4
	s_delay_alu instid0(VALU_DEP_1) | instskip(NEXT) | instid1(VALU_DEP_1)
	v_fmac_f32_e32 v6, v7, v2
	v_fma_f32 v0, -v0, v6, v4
	s_delay_alu instid0(VALU_DEP_1) | instskip(NEXT) | instid1(VALU_DEP_1)
	v_div_fmas_f32 v0, v0, v2, v6
	v_div_fixup_f32 v2, v0, v3, 1.0
.LBB23_34:
	v_add_nc_u32_e32 v0, s1, v1
	v_lshrrev_b32_e32 v1, 16, v18
	v_lshrrev_b32_e32 v6, 16, v17
	v_cvt_f32_f16_e32 v7, v18
	v_cvt_f32_f16_e32 v8, v17
	v_lshl_add_u32 v3, v0, 7, v15
	v_cvt_f32_f16_e32 v1, v1
	v_mov_b32_e32 v4, 0
	v_cvt_f32_f16_e32 v9, v6
	v_mul_f32_e32 v6, v2, v7
	v_mul_f32_e32 v8, v2, v8
	v_mul_f32_e32 v7, v2, v1
	v_lshlrev_b64 v[3:4], 2, v[3:4]
	v_mul_f32_e32 v9, v2, v9
	s_delay_alu instid0(VALU_DEP_2) | instskip(NEXT) | instid1(VALU_DEP_3)
	v_add_co_u32 v1, vcc_lo, s28, v3
	v_add_co_ci_u32_e32 v2, vcc_lo, s29, v4, vcc_lo
	global_store_b128 v[1:2], v[6:9], off
	s_and_saveexec_b32 s1, s0
	s_cbranch_execz .LBB23_36
; %bb.35:
	v_ashrrev_i32_e32 v1, 31, v0
	v_mov_b32_e32 v4, v12
	s_delay_alu instid0(VALU_DEP_2) | instskip(NEXT) | instid1(VALU_DEP_1)
	v_lshlrev_b64 v[0:1], 3, v[0:1]
	v_add_co_u32 v0, vcc_lo, s30, v0
	s_delay_alu instid0(VALU_DEP_2)
	v_add_co_ci_u32_e32 v1, vcc_lo, s31, v1, vcc_lo
	global_store_b64 v[0:1], v[4:5], off
.LBB23_36:
	s_nop 0
	s_sendmsg sendmsg(MSG_DEALLOC_VGPRS)
	s_endpgm
	.section	.rodata,"a",@progbits
	.p2align	6, 0x0
	.amdhsa_kernel _ZL15flash_attn_tileILi192ELi128ELi1ELi8ELb1EEvPKcS1_S1_S1_S1_PKiPfP15HIP_vector_typeIfLj2EEffffjfiS5_IjLj3EEiiiiiiiiiiiliiliiiiil
		.amdhsa_group_segment_fixed_size 8192
		.amdhsa_private_segment_fixed_size 0
		.amdhsa_kernarg_size 464
		.amdhsa_user_sgpr_count 13
		.amdhsa_user_sgpr_dispatch_ptr 0
		.amdhsa_user_sgpr_queue_ptr 0
		.amdhsa_user_sgpr_kernarg_segment_ptr 1
		.amdhsa_user_sgpr_dispatch_id 0
		.amdhsa_user_sgpr_private_segment_size 0
		.amdhsa_wavefront_size32 1
		.amdhsa_uses_dynamic_stack 0
		.amdhsa_enable_private_segment 0
		.amdhsa_system_sgpr_workgroup_id_x 1
		.amdhsa_system_sgpr_workgroup_id_y 1
		.amdhsa_system_sgpr_workgroup_id_z 1
		.amdhsa_system_sgpr_workgroup_info 0
		.amdhsa_system_vgpr_workitem_id 1
		.amdhsa_next_free_vgpr 106
		.amdhsa_next_free_sgpr 40
		.amdhsa_reserve_vcc 1
		.amdhsa_float_round_mode_32 0
		.amdhsa_float_round_mode_16_64 0
		.amdhsa_float_denorm_mode_32 3
		.amdhsa_float_denorm_mode_16_64 3
		.amdhsa_dx10_clamp 1
		.amdhsa_ieee_mode 1
		.amdhsa_fp16_overflow 0
		.amdhsa_workgroup_processor_mode 1
		.amdhsa_memory_ordered 1
		.amdhsa_forward_progress 0
		.amdhsa_shared_vgpr_count 0
		.amdhsa_exception_fp_ieee_invalid_op 0
		.amdhsa_exception_fp_denorm_src 0
		.amdhsa_exception_fp_ieee_div_zero 0
		.amdhsa_exception_fp_ieee_overflow 0
		.amdhsa_exception_fp_ieee_underflow 0
		.amdhsa_exception_fp_ieee_inexact 0
		.amdhsa_exception_int_div_zero 0
	.end_amdhsa_kernel
	.section	.text._ZL15flash_attn_tileILi192ELi128ELi1ELi8ELb1EEvPKcS1_S1_S1_S1_PKiPfP15HIP_vector_typeIfLj2EEffffjfiS5_IjLj3EEiiiiiiiiiiiliiliiiiil,"axG",@progbits,_ZL15flash_attn_tileILi192ELi128ELi1ELi8ELb1EEvPKcS1_S1_S1_S1_PKiPfP15HIP_vector_typeIfLj2EEffffjfiS5_IjLj3EEiiiiiiiiiiiliiliiiiil,comdat
.Lfunc_end23:
	.size	_ZL15flash_attn_tileILi192ELi128ELi1ELi8ELb1EEvPKcS1_S1_S1_S1_PKiPfP15HIP_vector_typeIfLj2EEffffjfiS5_IjLj3EEiiiiiiiiiiiliiliiiiil, .Lfunc_end23-_ZL15flash_attn_tileILi192ELi128ELi1ELi8ELb1EEvPKcS1_S1_S1_S1_PKiPfP15HIP_vector_typeIfLj2EEffffjfiS5_IjLj3EEiiiiiiiiiiiliiliiiiil
                                        ; -- End function
	.section	.AMDGPU.csdata,"",@progbits
; Kernel info:
; codeLenInByte = 11384
; NumSgprs: 42
; NumVgprs: 106
; ScratchSize: 0
; MemoryBound: 0
; FloatMode: 240
; IeeeMode: 1
; LDSByteSize: 8192 bytes/workgroup (compile time only)
; SGPRBlocks: 5
; VGPRBlocks: 13
; NumSGPRsForWavesPerEU: 42
; NumVGPRsForWavesPerEU: 106
; Occupancy: 12
; WaveLimiterHint : 1
; COMPUTE_PGM_RSRC2:SCRATCH_EN: 0
; COMPUTE_PGM_RSRC2:USER_SGPR: 13
; COMPUTE_PGM_RSRC2:TRAP_HANDLER: 0
; COMPUTE_PGM_RSRC2:TGID_X_EN: 1
; COMPUTE_PGM_RSRC2:TGID_Y_EN: 1
; COMPUTE_PGM_RSRC2:TGID_Z_EN: 1
; COMPUTE_PGM_RSRC2:TIDIG_COMP_CNT: 1
	.text
	.p2alignl 7, 3214868480
	.fill 96, 4, 3214868480
	.type	__hip_cuid_6c4f175d0b57d307,@object ; @__hip_cuid_6c4f175d0b57d307
	.section	.bss,"aw",@nobits
	.globl	__hip_cuid_6c4f175d0b57d307
__hip_cuid_6c4f175d0b57d307:
	.byte	0                               ; 0x0
	.size	__hip_cuid_6c4f175d0b57d307, 1

	.ident	"AMD clang version 19.0.0git (https://github.com/RadeonOpenCompute/llvm-project roc-6.4.0 25133 c7fe45cf4b819c5991fe208aaa96edf142730f1d)"
	.section	".note.GNU-stack","",@progbits
	.addrsig
	.addrsig_sym __hip_cuid_6c4f175d0b57d307
	.amdgpu_metadata
---
amdhsa.kernels:
  - .args:
      - .address_space:  global
        .offset:         0
        .size:           8
        .value_kind:     global_buffer
      - .address_space:  global
        .offset:         8
        .size:           8
        .value_kind:     global_buffer
      - .address_space:  global
        .offset:         16
        .size:           8
        .value_kind:     global_buffer
      - .address_space:  global
        .offset:         24
        .size:           8
        .value_kind:     global_buffer
      - .address_space:  global
        .offset:         32
        .size:           8
        .value_kind:     global_buffer
      - .address_space:  global
        .offset:         40
        .size:           8
        .value_kind:     global_buffer
      - .address_space:  global
        .offset:         48
        .size:           8
        .value_kind:     global_buffer
      - .address_space:  global
        .offset:         56
        .size:           8
        .value_kind:     global_buffer
      - .offset:         64
        .size:           4
        .value_kind:     by_value
      - .offset:         68
        .size:           4
        .value_kind:     by_value
      - .offset:         72
        .size:           4
        .value_kind:     by_value
      - .offset:         76
        .size:           4
        .value_kind:     by_value
      - .offset:         80
        .size:           4
        .value_kind:     by_value
      - .offset:         84
        .size:           4
        .value_kind:     by_value
      - .offset:         88
        .size:           4
        .value_kind:     by_value
      - .offset:         92
        .size:           12
        .value_kind:     by_value
      - .offset:         104
        .size:           4
        .value_kind:     by_value
      - .offset:         108
        .size:           4
        .value_kind:     by_value
      - .offset:         112
        .size:           4
        .value_kind:     by_value
      - .offset:         116
        .size:           4
        .value_kind:     by_value
      - .offset:         120
        .size:           4
        .value_kind:     by_value
      - .offset:         124
        .size:           4
        .value_kind:     by_value
      - .offset:         128
        .size:           4
        .value_kind:     by_value
      - .offset:         132
        .size:           4
        .value_kind:     by_value
      - .offset:         136
        .size:           4
        .value_kind:     by_value
      - .offset:         140
        .size:           4
        .value_kind:     by_value
      - .offset:         144
        .size:           4
        .value_kind:     by_value
      - .offset:         152
        .size:           8
        .value_kind:     by_value
      - .offset:         160
        .size:           4
        .value_kind:     by_value
      - .offset:         164
        .size:           4
        .value_kind:     by_value
      - .offset:         168
        .size:           8
        .value_kind:     by_value
      - .offset:         176
        .size:           4
        .value_kind:     by_value
      - .offset:         180
        .size:           4
        .value_kind:     by_value
      - .offset:         184
        .size:           4
        .value_kind:     by_value
      - .offset:         188
        .size:           4
        .value_kind:     by_value
      - .offset:         192
        .size:           4
        .value_kind:     by_value
      - .offset:         200
        .size:           8
        .value_kind:     by_value
      - .offset:         208
        .size:           4
        .value_kind:     hidden_block_count_x
      - .offset:         212
        .size:           4
        .value_kind:     hidden_block_count_y
      - .offset:         216
        .size:           4
        .value_kind:     hidden_block_count_z
      - .offset:         220
        .size:           2
        .value_kind:     hidden_group_size_x
      - .offset:         222
        .size:           2
        .value_kind:     hidden_group_size_y
      - .offset:         224
        .size:           2
        .value_kind:     hidden_group_size_z
      - .offset:         226
        .size:           2
        .value_kind:     hidden_remainder_x
      - .offset:         228
        .size:           2
        .value_kind:     hidden_remainder_y
      - .offset:         230
        .size:           2
        .value_kind:     hidden_remainder_z
      - .offset:         248
        .size:           8
        .value_kind:     hidden_global_offset_x
      - .offset:         256
        .size:           8
        .value_kind:     hidden_global_offset_y
      - .offset:         264
        .size:           8
        .value_kind:     hidden_global_offset_z
      - .offset:         272
        .size:           2
        .value_kind:     hidden_grid_dims
    .group_segment_fixed_size: 25600
    .kernarg_segment_align: 8
    .kernarg_segment_size: 464
    .language:       OpenCL C
    .language_version:
      - 2
      - 0
    .max_flat_workgroup_size: 256
    .name:           _ZL15flash_attn_tileILi192ELi128ELi2ELi16ELb0EEvPKcS1_S1_S1_S1_PKiPfP15HIP_vector_typeIfLj2EEffffjfiS5_IjLj3EEiiiiiiiiiiiliiliiiiil
    .private_segment_fixed_size: 0
    .sgpr_count:     55
    .sgpr_spill_count: 0
    .symbol:         _ZL15flash_attn_tileILi192ELi128ELi2ELi16ELb0EEvPKcS1_S1_S1_S1_PKiPfP15HIP_vector_typeIfLj2EEffffjfiS5_IjLj3EEiiiiiiiiiiiliiliiiiil.kd
    .uniform_work_group_size: 1
    .uses_dynamic_stack: false
    .vgpr_count:     138
    .vgpr_spill_count: 0
    .wavefront_size: 32
    .workgroup_processor_mode: 1
  - .args:
      - .actual_access:  read_only
        .address_space:  global
        .offset:         0
        .size:           8
        .value_kind:     global_buffer
      - .actual_access:  write_only
        .address_space:  global
        .offset:         8
        .size:           8
        .value_kind:     global_buffer
      - .offset:         16
        .size:           4
        .value_kind:     by_value
      - .offset:         20
        .size:           4
        .value_kind:     by_value
      - .offset:         24
        .size:           4
        .value_kind:     by_value
      - .offset:         32
        .size:           4
        .value_kind:     hidden_block_count_x
      - .offset:         36
        .size:           4
        .value_kind:     hidden_block_count_y
      - .offset:         40
        .size:           4
        .value_kind:     hidden_block_count_z
      - .offset:         44
        .size:           2
        .value_kind:     hidden_group_size_x
      - .offset:         46
        .size:           2
        .value_kind:     hidden_group_size_y
      - .offset:         48
        .size:           2
        .value_kind:     hidden_group_size_z
      - .offset:         50
        .size:           2
        .value_kind:     hidden_remainder_x
      - .offset:         52
        .size:           2
        .value_kind:     hidden_remainder_y
      - .offset:         54
        .size:           2
        .value_kind:     hidden_remainder_z
      - .offset:         72
        .size:           8
        .value_kind:     hidden_global_offset_x
      - .offset:         80
        .size:           8
        .value_kind:     hidden_global_offset_y
      - .offset:         88
        .size:           8
        .value_kind:     hidden_global_offset_z
      - .offset:         96
        .size:           2
        .value_kind:     hidden_grid_dims
    .group_segment_fixed_size: 128
    .kernarg_segment_align: 8
    .kernarg_segment_size: 288
    .language:       OpenCL C
    .language_version:
      - 2
      - 0
    .max_flat_workgroup_size: 128
    .name:           _ZL25flash_attn_mask_to_KV_maxILi2EEvPK7__half2Piiii
    .private_segment_fixed_size: 0
    .sgpr_count:     18
    .sgpr_spill_count: 0
    .symbol:         _ZL25flash_attn_mask_to_KV_maxILi2EEvPK7__half2Piiii.kd
    .uniform_work_group_size: 1
    .uses_dynamic_stack: false
    .vgpr_count:     7
    .vgpr_spill_count: 0
    .wavefront_size: 32
    .workgroup_processor_mode: 1
  - .args:
      - .address_space:  global
        .offset:         0
        .size:           8
        .value_kind:     global_buffer
      - .address_space:  global
        .offset:         8
        .size:           8
        .value_kind:     global_buffer
      - .offset:         16
        .size:           4
        .value_kind:     by_value
      - .offset:         20
        .size:           4
        .value_kind:     by_value
      - .offset:         24
        .size:           4
        .value_kind:     by_value
      - .offset:         28
        .size:           4
        .value_kind:     by_value
      - .offset:         32
        .size:           4
        .value_kind:     by_value
      - .offset:         36
        .size:           4
        .value_kind:     by_value
      - .offset:         40
        .size:           12
        .value_kind:     by_value
      - .offset:         52
        .size:           12
        .value_kind:     by_value
      - .offset:         64
        .size:           12
        .value_kind:     by_value
    .group_segment_fixed_size: 0
    .kernarg_segment_align: 8
    .kernarg_segment_size: 76
    .language:       OpenCL C
    .language_version:
      - 2
      - 0
    .max_flat_workgroup_size: 128
    .name:           _ZL33flash_attn_stream_k_fixup_uniformILi128ELi2ELi16EEvPfPK15HIP_vector_typeIfLj2EEiiiiiiS1_IjLj3EES5_S5_
    .private_segment_fixed_size: 0
    .sgpr_count:     22
    .sgpr_spill_count: 0
    .symbol:         _ZL33flash_attn_stream_k_fixup_uniformILi128ELi2ELi16EEvPfPK15HIP_vector_typeIfLj2EEiiiiiiS1_IjLj3EES5_S5_.kd
    .uniform_work_group_size: 1
    .uses_dynamic_stack: false
    .vgpr_count:     15
    .vgpr_spill_count: 0
    .wavefront_size: 32
    .workgroup_processor_mode: 1
  - .args:
      - .address_space:  global
        .offset:         0
        .size:           8
        .value_kind:     global_buffer
      - .address_space:  global
        .offset:         8
        .size:           8
        .value_kind:     global_buffer
      - .offset:         16
        .size:           4
        .value_kind:     by_value
      - .offset:         20
        .size:           4
        .value_kind:     by_value
      - .offset:         24
        .size:           4
        .value_kind:     by_value
      - .offset:         28
        .size:           4
        .value_kind:     by_value
      - .offset:         32
        .size:           12
        .value_kind:     by_value
      - .offset:         44
        .size:           12
        .value_kind:     by_value
      - .offset:         56
        .size:           12
        .value_kind:     by_value
      - .offset:         68
        .size:           12
        .value_kind:     by_value
      - .offset:         80
        .size:           4
        .value_kind:     hidden_block_count_x
      - .offset:         84
        .size:           4
        .value_kind:     hidden_block_count_y
      - .offset:         88
        .size:           4
        .value_kind:     hidden_block_count_z
      - .offset:         92
        .size:           2
        .value_kind:     hidden_group_size_x
      - .offset:         94
        .size:           2
        .value_kind:     hidden_group_size_y
      - .offset:         96
        .size:           2
        .value_kind:     hidden_group_size_z
      - .offset:         98
        .size:           2
        .value_kind:     hidden_remainder_x
      - .offset:         100
        .size:           2
        .value_kind:     hidden_remainder_y
      - .offset:         102
        .size:           2
        .value_kind:     hidden_remainder_z
      - .offset:         120
        .size:           8
        .value_kind:     hidden_global_offset_x
      - .offset:         128
        .size:           8
        .value_kind:     hidden_global_offset_y
      - .offset:         136
        .size:           8
        .value_kind:     hidden_global_offset_z
      - .offset:         144
        .size:           2
        .value_kind:     hidden_grid_dims
    .group_segment_fixed_size: 0
    .kernarg_segment_align: 8
    .kernarg_segment_size: 336
    .language:       OpenCL C
    .language_version:
      - 2
      - 0
    .max_flat_workgroup_size: 128
    .name:           _ZL33flash_attn_stream_k_fixup_generalILi128ELi2ELi16EEvPfPK15HIP_vector_typeIfLj2EEiiiiS1_IjLj3EES5_S5_S5_
    .private_segment_fixed_size: 0
    .sgpr_count:     34
    .sgpr_spill_count: 0
    .symbol:         _ZL33flash_attn_stream_k_fixup_generalILi128ELi2ELi16EEvPfPK15HIP_vector_typeIfLj2EEiiiiS1_IjLj3EES5_S5_S5_.kd
    .uniform_work_group_size: 1
    .uses_dynamic_stack: false
    .vgpr_count:     19
    .vgpr_spill_count: 0
    .wavefront_size: 32
    .workgroup_processor_mode: 1
  - .args:
      - .address_space:  global
        .offset:         0
        .size:           8
        .value_kind:     global_buffer
      - .address_space:  global
        .offset:         8
        .size:           8
        .value_kind:     global_buffer
      - .address_space:  global
        .offset:         16
        .size:           8
        .value_kind:     global_buffer
      - .offset:         24
        .size:           4
        .value_kind:     by_value
      - .offset:         32
        .size:           4
        .value_kind:     hidden_block_count_x
      - .offset:         36
        .size:           4
        .value_kind:     hidden_block_count_y
      - .offset:         40
        .size:           4
        .value_kind:     hidden_block_count_z
      - .offset:         44
        .size:           2
        .value_kind:     hidden_group_size_x
      - .offset:         46
        .size:           2
        .value_kind:     hidden_group_size_y
      - .offset:         48
        .size:           2
        .value_kind:     hidden_group_size_z
      - .offset:         50
        .size:           2
        .value_kind:     hidden_remainder_x
      - .offset:         52
        .size:           2
        .value_kind:     hidden_remainder_y
      - .offset:         54
        .size:           2
        .value_kind:     hidden_remainder_z
      - .offset:         72
        .size:           8
        .value_kind:     hidden_global_offset_x
      - .offset:         80
        .size:           8
        .value_kind:     hidden_global_offset_y
      - .offset:         88
        .size:           8
        .value_kind:     hidden_global_offset_z
      - .offset:         96
        .size:           2
        .value_kind:     hidden_grid_dims
      - .offset:         152
        .size:           4
        .value_kind:     hidden_dynamic_lds_size
    .group_segment_fixed_size: 0
    .kernarg_segment_align: 8
    .kernarg_segment_size: 288
    .language:       OpenCL C
    .language_version:
      - 2
      - 0
    .max_flat_workgroup_size: 128
    .name:           _ZL26flash_attn_combine_resultsILi128EEvPKfPK15HIP_vector_typeIfLj2EEPfi
    .private_segment_fixed_size: 0
    .sgpr_count:     18
    .sgpr_spill_count: 0
    .symbol:         _ZL26flash_attn_combine_resultsILi128EEvPKfPK15HIP_vector_typeIfLj2EEPfi.kd
    .uniform_work_group_size: 1
    .uses_dynamic_stack: false
    .vgpr_count:     55
    .vgpr_spill_count: 0
    .wavefront_size: 32
    .workgroup_processor_mode: 1
  - .args:
      - .address_space:  global
        .offset:         0
        .size:           8
        .value_kind:     global_buffer
      - .address_space:  global
        .offset:         8
        .size:           8
        .value_kind:     global_buffer
      - .address_space:  global
        .offset:         16
        .size:           8
        .value_kind:     global_buffer
      - .address_space:  global
        .offset:         24
        .size:           8
        .value_kind:     global_buffer
      - .address_space:  global
        .offset:         32
        .size:           8
        .value_kind:     global_buffer
      - .address_space:  global
        .offset:         40
        .size:           8
        .value_kind:     global_buffer
      - .address_space:  global
        .offset:         48
        .size:           8
        .value_kind:     global_buffer
      - .address_space:  global
        .offset:         56
        .size:           8
        .value_kind:     global_buffer
      - .offset:         64
        .size:           4
        .value_kind:     by_value
      - .offset:         68
        .size:           4
        .value_kind:     by_value
      - .offset:         72
        .size:           4
        .value_kind:     by_value
      - .offset:         76
        .size:           4
        .value_kind:     by_value
      - .offset:         80
        .size:           4
        .value_kind:     by_value
      - .offset:         84
        .size:           4
        .value_kind:     by_value
      - .offset:         88
        .size:           4
        .value_kind:     by_value
      - .offset:         92
        .size:           12
        .value_kind:     by_value
      - .offset:         104
        .size:           4
        .value_kind:     by_value
      - .offset:         108
        .size:           4
        .value_kind:     by_value
      - .offset:         112
        .size:           4
        .value_kind:     by_value
      - .offset:         116
        .size:           4
        .value_kind:     by_value
      - .offset:         120
        .size:           4
        .value_kind:     by_value
      - .offset:         124
        .size:           4
        .value_kind:     by_value
      - .offset:         128
        .size:           4
        .value_kind:     by_value
      - .offset:         132
        .size:           4
        .value_kind:     by_value
      - .offset:         136
        .size:           4
        .value_kind:     by_value
      - .offset:         140
        .size:           4
        .value_kind:     by_value
      - .offset:         144
        .size:           4
        .value_kind:     by_value
      - .offset:         152
        .size:           8
        .value_kind:     by_value
      - .offset:         160
        .size:           4
        .value_kind:     by_value
      - .offset:         164
        .size:           4
        .value_kind:     by_value
      - .offset:         168
        .size:           8
        .value_kind:     by_value
      - .offset:         176
        .size:           4
        .value_kind:     by_value
      - .offset:         180
        .size:           4
        .value_kind:     by_value
      - .offset:         184
        .size:           4
        .value_kind:     by_value
      - .offset:         188
        .size:           4
        .value_kind:     by_value
      - .offset:         192
        .size:           4
        .value_kind:     by_value
      - .offset:         200
        .size:           8
        .value_kind:     by_value
      - .offset:         208
        .size:           4
        .value_kind:     hidden_block_count_x
      - .offset:         212
        .size:           4
        .value_kind:     hidden_block_count_y
      - .offset:         216
        .size:           4
        .value_kind:     hidden_block_count_z
      - .offset:         220
        .size:           2
        .value_kind:     hidden_group_size_x
      - .offset:         222
        .size:           2
        .value_kind:     hidden_group_size_y
      - .offset:         224
        .size:           2
        .value_kind:     hidden_group_size_z
      - .offset:         226
        .size:           2
        .value_kind:     hidden_remainder_x
      - .offset:         228
        .size:           2
        .value_kind:     hidden_remainder_y
      - .offset:         230
        .size:           2
        .value_kind:     hidden_remainder_z
      - .offset:         248
        .size:           8
        .value_kind:     hidden_global_offset_x
      - .offset:         256
        .size:           8
        .value_kind:     hidden_global_offset_y
      - .offset:         264
        .size:           8
        .value_kind:     hidden_global_offset_z
      - .offset:         272
        .size:           2
        .value_kind:     hidden_grid_dims
    .group_segment_fixed_size: 11776
    .kernarg_segment_align: 8
    .kernarg_segment_size: 464
    .language:       OpenCL C
    .language_version:
      - 2
      - 0
    .max_flat_workgroup_size: 256
    .name:           _ZL15flash_attn_tileILi192ELi128ELi1ELi16ELb0EEvPKcS1_S1_S1_S1_PKiPfP15HIP_vector_typeIfLj2EEffffjfiS5_IjLj3EEiiiiiiiiiiiliiliiiiil
    .private_segment_fixed_size: 0
    .sgpr_count:     42
    .sgpr_spill_count: 0
    .symbol:         _ZL15flash_attn_tileILi192ELi128ELi1ELi16ELb0EEvPKcS1_S1_S1_S1_PKiPfP15HIP_vector_typeIfLj2EEffffjfiS5_IjLj3EEiiiiiiiiiiiliiliiiiil.kd
    .uniform_work_group_size: 1
    .uses_dynamic_stack: false
    .vgpr_count:     94
    .vgpr_spill_count: 0
    .wavefront_size: 32
    .workgroup_processor_mode: 1
  - .args:
      - .actual_access:  read_only
        .address_space:  global
        .offset:         0
        .size:           8
        .value_kind:     global_buffer
      - .actual_access:  write_only
        .address_space:  global
        .offset:         8
        .size:           8
        .value_kind:     global_buffer
      - .offset:         16
        .size:           4
        .value_kind:     by_value
      - .offset:         20
        .size:           4
        .value_kind:     by_value
      - .offset:         24
        .size:           4
        .value_kind:     by_value
      - .offset:         32
        .size:           4
        .value_kind:     hidden_block_count_x
      - .offset:         36
        .size:           4
        .value_kind:     hidden_block_count_y
      - .offset:         40
        .size:           4
        .value_kind:     hidden_block_count_z
      - .offset:         44
        .size:           2
        .value_kind:     hidden_group_size_x
      - .offset:         46
        .size:           2
        .value_kind:     hidden_group_size_y
      - .offset:         48
        .size:           2
        .value_kind:     hidden_group_size_z
      - .offset:         50
        .size:           2
        .value_kind:     hidden_remainder_x
      - .offset:         52
        .size:           2
        .value_kind:     hidden_remainder_y
      - .offset:         54
        .size:           2
        .value_kind:     hidden_remainder_z
      - .offset:         72
        .size:           8
        .value_kind:     hidden_global_offset_x
      - .offset:         80
        .size:           8
        .value_kind:     hidden_global_offset_y
      - .offset:         88
        .size:           8
        .value_kind:     hidden_global_offset_z
      - .offset:         96
        .size:           2
        .value_kind:     hidden_grid_dims
    .group_segment_fixed_size: 128
    .kernarg_segment_align: 8
    .kernarg_segment_size: 288
    .language:       OpenCL C
    .language_version:
      - 2
      - 0
    .max_flat_workgroup_size: 128
    .name:           _ZL25flash_attn_mask_to_KV_maxILi1EEvPK7__half2Piiii
    .private_segment_fixed_size: 0
    .sgpr_count:     18
    .sgpr_spill_count: 0
    .symbol:         _ZL25flash_attn_mask_to_KV_maxILi1EEvPK7__half2Piiii.kd
    .uniform_work_group_size: 1
    .uses_dynamic_stack: false
    .vgpr_count:     7
    .vgpr_spill_count: 0
    .wavefront_size: 32
    .workgroup_processor_mode: 1
  - .args:
      - .address_space:  global
        .offset:         0
        .size:           8
        .value_kind:     global_buffer
      - .address_space:  global
        .offset:         8
        .size:           8
        .value_kind:     global_buffer
      - .offset:         16
        .size:           4
        .value_kind:     by_value
      - .offset:         20
        .size:           4
        .value_kind:     by_value
      - .offset:         24
        .size:           4
        .value_kind:     by_value
      - .offset:         28
        .size:           4
        .value_kind:     by_value
      - .offset:         32
        .size:           4
        .value_kind:     by_value
      - .offset:         36
        .size:           4
        .value_kind:     by_value
      - .offset:         40
        .size:           12
        .value_kind:     by_value
      - .offset:         52
        .size:           12
        .value_kind:     by_value
      - .offset:         64
        .size:           12
        .value_kind:     by_value
    .group_segment_fixed_size: 0
    .kernarg_segment_align: 8
    .kernarg_segment_size: 76
    .language:       OpenCL C
    .language_version:
      - 2
      - 0
    .max_flat_workgroup_size: 128
    .name:           _ZL33flash_attn_stream_k_fixup_uniformILi128ELi1ELi16EEvPfPK15HIP_vector_typeIfLj2EEiiiiiiS1_IjLj3EES5_S5_
    .private_segment_fixed_size: 0
    .sgpr_count:     22
    .sgpr_spill_count: 0
    .symbol:         _ZL33flash_attn_stream_k_fixup_uniformILi128ELi1ELi16EEvPfPK15HIP_vector_typeIfLj2EEiiiiiiS1_IjLj3EES5_S5_.kd
    .uniform_work_group_size: 1
    .uses_dynamic_stack: false
    .vgpr_count:     15
    .vgpr_spill_count: 0
    .wavefront_size: 32
    .workgroup_processor_mode: 1
  - .args:
      - .address_space:  global
        .offset:         0
        .size:           8
        .value_kind:     global_buffer
      - .address_space:  global
        .offset:         8
        .size:           8
        .value_kind:     global_buffer
      - .offset:         16
        .size:           4
        .value_kind:     by_value
      - .offset:         20
        .size:           4
        .value_kind:     by_value
      - .offset:         24
        .size:           4
        .value_kind:     by_value
      - .offset:         28
        .size:           4
        .value_kind:     by_value
      - .offset:         32
        .size:           12
        .value_kind:     by_value
      - .offset:         44
        .size:           12
        .value_kind:     by_value
      - .offset:         56
        .size:           12
        .value_kind:     by_value
      - .offset:         68
        .size:           12
        .value_kind:     by_value
      - .offset:         80
        .size:           4
        .value_kind:     hidden_block_count_x
      - .offset:         84
        .size:           4
        .value_kind:     hidden_block_count_y
      - .offset:         88
        .size:           4
        .value_kind:     hidden_block_count_z
      - .offset:         92
        .size:           2
        .value_kind:     hidden_group_size_x
      - .offset:         94
        .size:           2
        .value_kind:     hidden_group_size_y
      - .offset:         96
        .size:           2
        .value_kind:     hidden_group_size_z
      - .offset:         98
        .size:           2
        .value_kind:     hidden_remainder_x
      - .offset:         100
        .size:           2
        .value_kind:     hidden_remainder_y
      - .offset:         102
        .size:           2
        .value_kind:     hidden_remainder_z
      - .offset:         120
        .size:           8
        .value_kind:     hidden_global_offset_x
      - .offset:         128
        .size:           8
        .value_kind:     hidden_global_offset_y
      - .offset:         136
        .size:           8
        .value_kind:     hidden_global_offset_z
      - .offset:         144
        .size:           2
        .value_kind:     hidden_grid_dims
    .group_segment_fixed_size: 0
    .kernarg_segment_align: 8
    .kernarg_segment_size: 336
    .language:       OpenCL C
    .language_version:
      - 2
      - 0
    .max_flat_workgroup_size: 128
    .name:           _ZL33flash_attn_stream_k_fixup_generalILi128ELi1ELi16EEvPfPK15HIP_vector_typeIfLj2EEiiiiS1_IjLj3EES5_S5_S5_
    .private_segment_fixed_size: 0
    .sgpr_count:     34
    .sgpr_spill_count: 0
    .symbol:         _ZL33flash_attn_stream_k_fixup_generalILi128ELi1ELi16EEvPfPK15HIP_vector_typeIfLj2EEiiiiS1_IjLj3EES5_S5_S5_.kd
    .uniform_work_group_size: 1
    .uses_dynamic_stack: false
    .vgpr_count:     19
    .vgpr_spill_count: 0
    .wavefront_size: 32
    .workgroup_processor_mode: 1
  - .args:
      - .address_space:  global
        .offset:         0
        .size:           8
        .value_kind:     global_buffer
      - .address_space:  global
        .offset:         8
        .size:           8
        .value_kind:     global_buffer
      - .address_space:  global
        .offset:         16
        .size:           8
        .value_kind:     global_buffer
      - .address_space:  global
        .offset:         24
        .size:           8
        .value_kind:     global_buffer
      - .address_space:  global
        .offset:         32
        .size:           8
        .value_kind:     global_buffer
      - .address_space:  global
        .offset:         40
        .size:           8
        .value_kind:     global_buffer
      - .address_space:  global
        .offset:         48
        .size:           8
        .value_kind:     global_buffer
      - .address_space:  global
        .offset:         56
        .size:           8
        .value_kind:     global_buffer
      - .offset:         64
        .size:           4
        .value_kind:     by_value
      - .offset:         68
        .size:           4
        .value_kind:     by_value
      - .offset:         72
        .size:           4
        .value_kind:     by_value
      - .offset:         76
        .size:           4
        .value_kind:     by_value
      - .offset:         80
        .size:           4
        .value_kind:     by_value
      - .offset:         84
        .size:           4
        .value_kind:     by_value
      - .offset:         88
        .size:           4
        .value_kind:     by_value
      - .offset:         92
        .size:           12
        .value_kind:     by_value
      - .offset:         104
        .size:           4
        .value_kind:     by_value
      - .offset:         108
        .size:           4
        .value_kind:     by_value
      - .offset:         112
        .size:           4
        .value_kind:     by_value
      - .offset:         116
        .size:           4
        .value_kind:     by_value
      - .offset:         120
        .size:           4
        .value_kind:     by_value
      - .offset:         124
        .size:           4
        .value_kind:     by_value
      - .offset:         128
        .size:           4
        .value_kind:     by_value
      - .offset:         132
        .size:           4
        .value_kind:     by_value
      - .offset:         136
        .size:           4
        .value_kind:     by_value
      - .offset:         140
        .size:           4
        .value_kind:     by_value
      - .offset:         144
        .size:           4
        .value_kind:     by_value
      - .offset:         152
        .size:           8
        .value_kind:     by_value
      - .offset:         160
        .size:           4
        .value_kind:     by_value
      - .offset:         164
        .size:           4
        .value_kind:     by_value
      - .offset:         168
        .size:           8
        .value_kind:     by_value
      - .offset:         176
        .size:           4
        .value_kind:     by_value
      - .offset:         180
        .size:           4
        .value_kind:     by_value
      - .offset:         184
        .size:           4
        .value_kind:     by_value
      - .offset:         188
        .size:           4
        .value_kind:     by_value
      - .offset:         192
        .size:           4
        .value_kind:     by_value
      - .offset:         200
        .size:           8
        .value_kind:     by_value
      - .offset:         208
        .size:           4
        .value_kind:     hidden_block_count_x
      - .offset:         212
        .size:           4
        .value_kind:     hidden_block_count_y
      - .offset:         216
        .size:           4
        .value_kind:     hidden_block_count_z
      - .offset:         220
        .size:           2
        .value_kind:     hidden_group_size_x
      - .offset:         222
        .size:           2
        .value_kind:     hidden_group_size_y
      - .offset:         224
        .size:           2
        .value_kind:     hidden_group_size_z
      - .offset:         226
        .size:           2
        .value_kind:     hidden_remainder_x
      - .offset:         228
        .size:           2
        .value_kind:     hidden_remainder_y
      - .offset:         230
        .size:           2
        .value_kind:     hidden_remainder_z
      - .offset:         248
        .size:           8
        .value_kind:     hidden_global_offset_x
      - .offset:         256
        .size:           8
        .value_kind:     hidden_global_offset_y
      - .offset:         264
        .size:           8
        .value_kind:     hidden_global_offset_z
      - .offset:         272
        .size:           2
        .value_kind:     hidden_grid_dims
    .group_segment_fixed_size: 25600
    .kernarg_segment_align: 8
    .kernarg_segment_size: 464
    .language:       OpenCL C
    .language_version:
      - 2
      - 0
    .max_flat_workgroup_size: 256
    .name:           _ZL15flash_attn_tileILi192ELi128ELi4ELi8ELb0EEvPKcS1_S1_S1_S1_PKiPfP15HIP_vector_typeIfLj2EEffffjfiS5_IjLj3EEiiiiiiiiiiiliiliiiiil
    .private_segment_fixed_size: 0
    .sgpr_count:     55
    .sgpr_spill_count: 0
    .symbol:         _ZL15flash_attn_tileILi192ELi128ELi4ELi8ELb0EEvPKcS1_S1_S1_S1_PKiPfP15HIP_vector_typeIfLj2EEffffjfiS5_IjLj3EEiiiiiiiiiiiliiliiiiil.kd
    .uniform_work_group_size: 1
    .uses_dynamic_stack: false
    .vgpr_count:     138
    .vgpr_spill_count: 0
    .wavefront_size: 32
    .workgroup_processor_mode: 1
  - .args:
      - .actual_access:  read_only
        .address_space:  global
        .offset:         0
        .size:           8
        .value_kind:     global_buffer
      - .actual_access:  write_only
        .address_space:  global
        .offset:         8
        .size:           8
        .value_kind:     global_buffer
      - .offset:         16
        .size:           4
        .value_kind:     by_value
      - .offset:         20
        .size:           4
        .value_kind:     by_value
      - .offset:         24
        .size:           4
        .value_kind:     by_value
      - .offset:         32
        .size:           4
        .value_kind:     hidden_block_count_x
      - .offset:         36
        .size:           4
        .value_kind:     hidden_block_count_y
      - .offset:         40
        .size:           4
        .value_kind:     hidden_block_count_z
      - .offset:         44
        .size:           2
        .value_kind:     hidden_group_size_x
      - .offset:         46
        .size:           2
        .value_kind:     hidden_group_size_y
      - .offset:         48
        .size:           2
        .value_kind:     hidden_group_size_z
      - .offset:         50
        .size:           2
        .value_kind:     hidden_remainder_x
      - .offset:         52
        .size:           2
        .value_kind:     hidden_remainder_y
      - .offset:         54
        .size:           2
        .value_kind:     hidden_remainder_z
      - .offset:         72
        .size:           8
        .value_kind:     hidden_global_offset_x
      - .offset:         80
        .size:           8
        .value_kind:     hidden_global_offset_y
      - .offset:         88
        .size:           8
        .value_kind:     hidden_global_offset_z
      - .offset:         96
        .size:           2
        .value_kind:     hidden_grid_dims
    .group_segment_fixed_size: 128
    .kernarg_segment_align: 8
    .kernarg_segment_size: 288
    .language:       OpenCL C
    .language_version:
      - 2
      - 0
    .max_flat_workgroup_size: 128
    .name:           _ZL25flash_attn_mask_to_KV_maxILi4EEvPK7__half2Piiii
    .private_segment_fixed_size: 0
    .sgpr_count:     21
    .sgpr_spill_count: 0
    .symbol:         _ZL25flash_attn_mask_to_KV_maxILi4EEvPK7__half2Piiii.kd
    .uniform_work_group_size: 1
    .uses_dynamic_stack: false
    .vgpr_count:     9
    .vgpr_spill_count: 0
    .wavefront_size: 32
    .workgroup_processor_mode: 1
  - .args:
      - .address_space:  global
        .offset:         0
        .size:           8
        .value_kind:     global_buffer
      - .address_space:  global
        .offset:         8
        .size:           8
        .value_kind:     global_buffer
      - .offset:         16
        .size:           4
        .value_kind:     by_value
      - .offset:         20
        .size:           4
        .value_kind:     by_value
      - .offset:         24
        .size:           4
        .value_kind:     by_value
      - .offset:         28
        .size:           4
        .value_kind:     by_value
      - .offset:         32
        .size:           4
        .value_kind:     by_value
      - .offset:         36
        .size:           4
        .value_kind:     by_value
      - .offset:         40
        .size:           12
        .value_kind:     by_value
      - .offset:         52
        .size:           12
        .value_kind:     by_value
      - .offset:         64
        .size:           12
        .value_kind:     by_value
    .group_segment_fixed_size: 0
    .kernarg_segment_align: 8
    .kernarg_segment_size: 76
    .language:       OpenCL C
    .language_version:
      - 2
      - 0
    .max_flat_workgroup_size: 128
    .name:           _ZL33flash_attn_stream_k_fixup_uniformILi128ELi4ELi8EEvPfPK15HIP_vector_typeIfLj2EEiiiiiiS1_IjLj3EES5_S5_
    .private_segment_fixed_size: 0
    .sgpr_count:     22
    .sgpr_spill_count: 0
    .symbol:         _ZL33flash_attn_stream_k_fixup_uniformILi128ELi4ELi8EEvPfPK15HIP_vector_typeIfLj2EEiiiiiiS1_IjLj3EES5_S5_.kd
    .uniform_work_group_size: 1
    .uses_dynamic_stack: false
    .vgpr_count:     15
    .vgpr_spill_count: 0
    .wavefront_size: 32
    .workgroup_processor_mode: 1
  - .args:
      - .address_space:  global
        .offset:         0
        .size:           8
        .value_kind:     global_buffer
      - .address_space:  global
        .offset:         8
        .size:           8
        .value_kind:     global_buffer
      - .offset:         16
        .size:           4
        .value_kind:     by_value
      - .offset:         20
        .size:           4
        .value_kind:     by_value
      - .offset:         24
        .size:           4
        .value_kind:     by_value
      - .offset:         28
        .size:           4
        .value_kind:     by_value
      - .offset:         32
        .size:           12
        .value_kind:     by_value
      - .offset:         44
        .size:           12
        .value_kind:     by_value
      - .offset:         56
        .size:           12
        .value_kind:     by_value
      - .offset:         68
        .size:           12
        .value_kind:     by_value
      - .offset:         80
        .size:           4
        .value_kind:     hidden_block_count_x
      - .offset:         84
        .size:           4
        .value_kind:     hidden_block_count_y
      - .offset:         88
        .size:           4
        .value_kind:     hidden_block_count_z
      - .offset:         92
        .size:           2
        .value_kind:     hidden_group_size_x
      - .offset:         94
        .size:           2
        .value_kind:     hidden_group_size_y
      - .offset:         96
        .size:           2
        .value_kind:     hidden_group_size_z
      - .offset:         98
        .size:           2
        .value_kind:     hidden_remainder_x
      - .offset:         100
        .size:           2
        .value_kind:     hidden_remainder_y
      - .offset:         102
        .size:           2
        .value_kind:     hidden_remainder_z
      - .offset:         120
        .size:           8
        .value_kind:     hidden_global_offset_x
      - .offset:         128
        .size:           8
        .value_kind:     hidden_global_offset_y
      - .offset:         136
        .size:           8
        .value_kind:     hidden_global_offset_z
      - .offset:         144
        .size:           2
        .value_kind:     hidden_grid_dims
    .group_segment_fixed_size: 0
    .kernarg_segment_align: 8
    .kernarg_segment_size: 336
    .language:       OpenCL C
    .language_version:
      - 2
      - 0
    .max_flat_workgroup_size: 128
    .name:           _ZL33flash_attn_stream_k_fixup_generalILi128ELi4ELi8EEvPfPK15HIP_vector_typeIfLj2EEiiiiS1_IjLj3EES5_S5_S5_
    .private_segment_fixed_size: 0
    .sgpr_count:     34
    .sgpr_spill_count: 0
    .symbol:         _ZL33flash_attn_stream_k_fixup_generalILi128ELi4ELi8EEvPfPK15HIP_vector_typeIfLj2EEiiiiS1_IjLj3EES5_S5_S5_.kd
    .uniform_work_group_size: 1
    .uses_dynamic_stack: false
    .vgpr_count:     19
    .vgpr_spill_count: 0
    .wavefront_size: 32
    .workgroup_processor_mode: 1
  - .args:
      - .address_space:  global
        .offset:         0
        .size:           8
        .value_kind:     global_buffer
      - .address_space:  global
        .offset:         8
        .size:           8
        .value_kind:     global_buffer
      - .address_space:  global
        .offset:         16
        .size:           8
        .value_kind:     global_buffer
      - .address_space:  global
        .offset:         24
        .size:           8
        .value_kind:     global_buffer
      - .address_space:  global
        .offset:         32
        .size:           8
        .value_kind:     global_buffer
      - .address_space:  global
        .offset:         40
        .size:           8
        .value_kind:     global_buffer
      - .address_space:  global
        .offset:         48
        .size:           8
        .value_kind:     global_buffer
      - .address_space:  global
        .offset:         56
        .size:           8
        .value_kind:     global_buffer
      - .offset:         64
        .size:           4
        .value_kind:     by_value
      - .offset:         68
        .size:           4
        .value_kind:     by_value
      - .offset:         72
        .size:           4
        .value_kind:     by_value
      - .offset:         76
        .size:           4
        .value_kind:     by_value
      - .offset:         80
        .size:           4
        .value_kind:     by_value
      - .offset:         84
        .size:           4
        .value_kind:     by_value
      - .offset:         88
        .size:           4
        .value_kind:     by_value
      - .offset:         92
        .size:           12
        .value_kind:     by_value
      - .offset:         104
        .size:           4
        .value_kind:     by_value
      - .offset:         108
        .size:           4
        .value_kind:     by_value
      - .offset:         112
        .size:           4
        .value_kind:     by_value
      - .offset:         116
        .size:           4
        .value_kind:     by_value
      - .offset:         120
        .size:           4
        .value_kind:     by_value
      - .offset:         124
        .size:           4
        .value_kind:     by_value
      - .offset:         128
        .size:           4
        .value_kind:     by_value
      - .offset:         132
        .size:           4
        .value_kind:     by_value
      - .offset:         136
        .size:           4
        .value_kind:     by_value
      - .offset:         140
        .size:           4
        .value_kind:     by_value
      - .offset:         144
        .size:           4
        .value_kind:     by_value
      - .offset:         152
        .size:           8
        .value_kind:     by_value
      - .offset:         160
        .size:           4
        .value_kind:     by_value
      - .offset:         164
        .size:           4
        .value_kind:     by_value
      - .offset:         168
        .size:           8
        .value_kind:     by_value
      - .offset:         176
        .size:           4
        .value_kind:     by_value
      - .offset:         180
        .size:           4
        .value_kind:     by_value
      - .offset:         184
        .size:           4
        .value_kind:     by_value
      - .offset:         188
        .size:           4
        .value_kind:     by_value
      - .offset:         192
        .size:           4
        .value_kind:     by_value
      - .offset:         200
        .size:           8
        .value_kind:     by_value
      - .offset:         208
        .size:           4
        .value_kind:     hidden_block_count_x
      - .offset:         212
        .size:           4
        .value_kind:     hidden_block_count_y
      - .offset:         216
        .size:           4
        .value_kind:     hidden_block_count_z
      - .offset:         220
        .size:           2
        .value_kind:     hidden_group_size_x
      - .offset:         222
        .size:           2
        .value_kind:     hidden_group_size_y
      - .offset:         224
        .size:           2
        .value_kind:     hidden_group_size_z
      - .offset:         226
        .size:           2
        .value_kind:     hidden_remainder_x
      - .offset:         228
        .size:           2
        .value_kind:     hidden_remainder_y
      - .offset:         230
        .size:           2
        .value_kind:     hidden_remainder_z
      - .offset:         248
        .size:           8
        .value_kind:     hidden_global_offset_x
      - .offset:         256
        .size:           8
        .value_kind:     hidden_global_offset_y
      - .offset:         264
        .size:           8
        .value_kind:     hidden_global_offset_z
      - .offset:         272
        .size:           2
        .value_kind:     hidden_grid_dims
    .group_segment_fixed_size: 11776
    .kernarg_segment_align: 8
    .kernarg_segment_size: 464
    .language:       OpenCL C
    .language_version:
      - 2
      - 0
    .max_flat_workgroup_size: 256
    .name:           _ZL15flash_attn_tileILi192ELi128ELi2ELi8ELb0EEvPKcS1_S1_S1_S1_PKiPfP15HIP_vector_typeIfLj2EEffffjfiS5_IjLj3EEiiiiiiiiiiiliiliiiiil
    .private_segment_fixed_size: 0
    .sgpr_count:     42
    .sgpr_spill_count: 0
    .symbol:         _ZL15flash_attn_tileILi192ELi128ELi2ELi8ELb0EEvPKcS1_S1_S1_S1_PKiPfP15HIP_vector_typeIfLj2EEffffjfiS5_IjLj3EEiiiiiiiiiiiliiliiiiil.kd
    .uniform_work_group_size: 1
    .uses_dynamic_stack: false
    .vgpr_count:     94
    .vgpr_spill_count: 0
    .wavefront_size: 32
    .workgroup_processor_mode: 1
  - .args:
      - .address_space:  global
        .offset:         0
        .size:           8
        .value_kind:     global_buffer
      - .address_space:  global
        .offset:         8
        .size:           8
        .value_kind:     global_buffer
      - .offset:         16
        .size:           4
        .value_kind:     by_value
      - .offset:         20
        .size:           4
        .value_kind:     by_value
      - .offset:         24
        .size:           4
        .value_kind:     by_value
      - .offset:         28
        .size:           4
        .value_kind:     by_value
      - .offset:         32
        .size:           4
        .value_kind:     by_value
      - .offset:         36
        .size:           4
        .value_kind:     by_value
      - .offset:         40
        .size:           12
        .value_kind:     by_value
      - .offset:         52
        .size:           12
        .value_kind:     by_value
      - .offset:         64
        .size:           12
        .value_kind:     by_value
    .group_segment_fixed_size: 0
    .kernarg_segment_align: 8
    .kernarg_segment_size: 76
    .language:       OpenCL C
    .language_version:
      - 2
      - 0
    .max_flat_workgroup_size: 128
    .name:           _ZL33flash_attn_stream_k_fixup_uniformILi128ELi2ELi8EEvPfPK15HIP_vector_typeIfLj2EEiiiiiiS1_IjLj3EES5_S5_
    .private_segment_fixed_size: 0
    .sgpr_count:     22
    .sgpr_spill_count: 0
    .symbol:         _ZL33flash_attn_stream_k_fixup_uniformILi128ELi2ELi8EEvPfPK15HIP_vector_typeIfLj2EEiiiiiiS1_IjLj3EES5_S5_.kd
    .uniform_work_group_size: 1
    .uses_dynamic_stack: false
    .vgpr_count:     15
    .vgpr_spill_count: 0
    .wavefront_size: 32
    .workgroup_processor_mode: 1
  - .args:
      - .address_space:  global
        .offset:         0
        .size:           8
        .value_kind:     global_buffer
      - .address_space:  global
        .offset:         8
        .size:           8
        .value_kind:     global_buffer
      - .offset:         16
        .size:           4
        .value_kind:     by_value
      - .offset:         20
        .size:           4
        .value_kind:     by_value
      - .offset:         24
        .size:           4
        .value_kind:     by_value
      - .offset:         28
        .size:           4
        .value_kind:     by_value
      - .offset:         32
        .size:           12
        .value_kind:     by_value
      - .offset:         44
        .size:           12
        .value_kind:     by_value
      - .offset:         56
        .size:           12
        .value_kind:     by_value
      - .offset:         68
        .size:           12
        .value_kind:     by_value
      - .offset:         80
        .size:           4
        .value_kind:     hidden_block_count_x
      - .offset:         84
        .size:           4
        .value_kind:     hidden_block_count_y
      - .offset:         88
        .size:           4
        .value_kind:     hidden_block_count_z
      - .offset:         92
        .size:           2
        .value_kind:     hidden_group_size_x
      - .offset:         94
        .size:           2
        .value_kind:     hidden_group_size_y
      - .offset:         96
        .size:           2
        .value_kind:     hidden_group_size_z
      - .offset:         98
        .size:           2
        .value_kind:     hidden_remainder_x
      - .offset:         100
        .size:           2
        .value_kind:     hidden_remainder_y
      - .offset:         102
        .size:           2
        .value_kind:     hidden_remainder_z
      - .offset:         120
        .size:           8
        .value_kind:     hidden_global_offset_x
      - .offset:         128
        .size:           8
        .value_kind:     hidden_global_offset_y
      - .offset:         136
        .size:           8
        .value_kind:     hidden_global_offset_z
      - .offset:         144
        .size:           2
        .value_kind:     hidden_grid_dims
    .group_segment_fixed_size: 0
    .kernarg_segment_align: 8
    .kernarg_segment_size: 336
    .language:       OpenCL C
    .language_version:
      - 2
      - 0
    .max_flat_workgroup_size: 128
    .name:           _ZL33flash_attn_stream_k_fixup_generalILi128ELi2ELi8EEvPfPK15HIP_vector_typeIfLj2EEiiiiS1_IjLj3EES5_S5_S5_
    .private_segment_fixed_size: 0
    .sgpr_count:     34
    .sgpr_spill_count: 0
    .symbol:         _ZL33flash_attn_stream_k_fixup_generalILi128ELi2ELi8EEvPfPK15HIP_vector_typeIfLj2EEiiiiS1_IjLj3EES5_S5_S5_.kd
    .uniform_work_group_size: 1
    .uses_dynamic_stack: false
    .vgpr_count:     19
    .vgpr_spill_count: 0
    .wavefront_size: 32
    .workgroup_processor_mode: 1
  - .args:
      - .address_space:  global
        .offset:         0
        .size:           8
        .value_kind:     global_buffer
      - .address_space:  global
        .offset:         8
        .size:           8
        .value_kind:     global_buffer
      - .address_space:  global
        .offset:         16
        .size:           8
        .value_kind:     global_buffer
      - .address_space:  global
        .offset:         24
        .size:           8
        .value_kind:     global_buffer
      - .address_space:  global
        .offset:         32
        .size:           8
        .value_kind:     global_buffer
      - .address_space:  global
        .offset:         40
        .size:           8
        .value_kind:     global_buffer
      - .address_space:  global
        .offset:         48
        .size:           8
        .value_kind:     global_buffer
      - .address_space:  global
        .offset:         56
        .size:           8
        .value_kind:     global_buffer
      - .offset:         64
        .size:           4
        .value_kind:     by_value
      - .offset:         68
        .size:           4
        .value_kind:     by_value
      - .offset:         72
        .size:           4
        .value_kind:     by_value
      - .offset:         76
        .size:           4
        .value_kind:     by_value
      - .offset:         80
        .size:           4
        .value_kind:     by_value
      - .offset:         84
        .size:           4
        .value_kind:     by_value
      - .offset:         88
        .size:           4
        .value_kind:     by_value
      - .offset:         92
        .size:           12
        .value_kind:     by_value
      - .offset:         104
        .size:           4
        .value_kind:     by_value
      - .offset:         108
        .size:           4
        .value_kind:     by_value
      - .offset:         112
        .size:           4
        .value_kind:     by_value
      - .offset:         116
        .size:           4
        .value_kind:     by_value
      - .offset:         120
        .size:           4
        .value_kind:     by_value
      - .offset:         124
        .size:           4
        .value_kind:     by_value
      - .offset:         128
        .size:           4
        .value_kind:     by_value
      - .offset:         132
        .size:           4
        .value_kind:     by_value
      - .offset:         136
        .size:           4
        .value_kind:     by_value
      - .offset:         140
        .size:           4
        .value_kind:     by_value
      - .offset:         144
        .size:           4
        .value_kind:     by_value
      - .offset:         152
        .size:           8
        .value_kind:     by_value
      - .offset:         160
        .size:           4
        .value_kind:     by_value
      - .offset:         164
        .size:           4
        .value_kind:     by_value
      - .offset:         168
        .size:           8
        .value_kind:     by_value
      - .offset:         176
        .size:           4
        .value_kind:     by_value
      - .offset:         180
        .size:           4
        .value_kind:     by_value
      - .offset:         184
        .size:           4
        .value_kind:     by_value
      - .offset:         188
        .size:           4
        .value_kind:     by_value
      - .offset:         192
        .size:           4
        .value_kind:     by_value
      - .offset:         200
        .size:           8
        .value_kind:     by_value
      - .offset:         208
        .size:           4
        .value_kind:     hidden_block_count_x
      - .offset:         212
        .size:           4
        .value_kind:     hidden_block_count_y
      - .offset:         216
        .size:           4
        .value_kind:     hidden_block_count_z
      - .offset:         220
        .size:           2
        .value_kind:     hidden_group_size_x
      - .offset:         222
        .size:           2
        .value_kind:     hidden_group_size_y
      - .offset:         224
        .size:           2
        .value_kind:     hidden_group_size_z
      - .offset:         226
        .size:           2
        .value_kind:     hidden_remainder_x
      - .offset:         228
        .size:           2
        .value_kind:     hidden_remainder_y
      - .offset:         230
        .size:           2
        .value_kind:     hidden_remainder_z
      - .offset:         248
        .size:           8
        .value_kind:     hidden_global_offset_x
      - .offset:         256
        .size:           8
        .value_kind:     hidden_global_offset_y
      - .offset:         264
        .size:           8
        .value_kind:     hidden_global_offset_z
      - .offset:         272
        .size:           2
        .value_kind:     hidden_grid_dims
    .group_segment_fixed_size: 8192
    .kernarg_segment_align: 8
    .kernarg_segment_size: 464
    .language:       OpenCL C
    .language_version:
      - 2
      - 0
    .max_flat_workgroup_size: 128
    .name:           _ZL15flash_attn_tileILi192ELi128ELi1ELi8ELb0EEvPKcS1_S1_S1_S1_PKiPfP15HIP_vector_typeIfLj2EEffffjfiS5_IjLj3EEiiiiiiiiiiiliiliiiiil
    .private_segment_fixed_size: 0
    .sgpr_count:     42
    .sgpr_spill_count: 0
    .symbol:         _ZL15flash_attn_tileILi192ELi128ELi1ELi8ELb0EEvPKcS1_S1_S1_S1_PKiPfP15HIP_vector_typeIfLj2EEffffjfiS5_IjLj3EEiiiiiiiiiiiliiliiiiil.kd
    .uniform_work_group_size: 1
    .uses_dynamic_stack: false
    .vgpr_count:     97
    .vgpr_spill_count: 0
    .wavefront_size: 32
    .workgroup_processor_mode: 1
  - .args:
      - .address_space:  global
        .offset:         0
        .size:           8
        .value_kind:     global_buffer
      - .address_space:  global
        .offset:         8
        .size:           8
        .value_kind:     global_buffer
      - .offset:         16
        .size:           4
        .value_kind:     by_value
      - .offset:         20
        .size:           4
        .value_kind:     by_value
      - .offset:         24
        .size:           4
        .value_kind:     by_value
      - .offset:         28
        .size:           4
        .value_kind:     by_value
      - .offset:         32
        .size:           4
        .value_kind:     by_value
      - .offset:         36
        .size:           4
        .value_kind:     by_value
      - .offset:         40
        .size:           12
        .value_kind:     by_value
      - .offset:         52
        .size:           12
        .value_kind:     by_value
      - .offset:         64
        .size:           12
        .value_kind:     by_value
    .group_segment_fixed_size: 0
    .kernarg_segment_align: 8
    .kernarg_segment_size: 76
    .language:       OpenCL C
    .language_version:
      - 2
      - 0
    .max_flat_workgroup_size: 128
    .name:           _ZL33flash_attn_stream_k_fixup_uniformILi128ELi1ELi8EEvPfPK15HIP_vector_typeIfLj2EEiiiiiiS1_IjLj3EES5_S5_
    .private_segment_fixed_size: 0
    .sgpr_count:     22
    .sgpr_spill_count: 0
    .symbol:         _ZL33flash_attn_stream_k_fixup_uniformILi128ELi1ELi8EEvPfPK15HIP_vector_typeIfLj2EEiiiiiiS1_IjLj3EES5_S5_.kd
    .uniform_work_group_size: 1
    .uses_dynamic_stack: false
    .vgpr_count:     15
    .vgpr_spill_count: 0
    .wavefront_size: 32
    .workgroup_processor_mode: 1
  - .args:
      - .address_space:  global
        .offset:         0
        .size:           8
        .value_kind:     global_buffer
      - .address_space:  global
        .offset:         8
        .size:           8
        .value_kind:     global_buffer
      - .offset:         16
        .size:           4
        .value_kind:     by_value
      - .offset:         20
        .size:           4
        .value_kind:     by_value
      - .offset:         24
        .size:           4
        .value_kind:     by_value
      - .offset:         28
        .size:           4
        .value_kind:     by_value
      - .offset:         32
        .size:           12
        .value_kind:     by_value
      - .offset:         44
        .size:           12
        .value_kind:     by_value
      - .offset:         56
        .size:           12
        .value_kind:     by_value
      - .offset:         68
        .size:           12
        .value_kind:     by_value
      - .offset:         80
        .size:           4
        .value_kind:     hidden_block_count_x
      - .offset:         84
        .size:           4
        .value_kind:     hidden_block_count_y
      - .offset:         88
        .size:           4
        .value_kind:     hidden_block_count_z
      - .offset:         92
        .size:           2
        .value_kind:     hidden_group_size_x
      - .offset:         94
        .size:           2
        .value_kind:     hidden_group_size_y
      - .offset:         96
        .size:           2
        .value_kind:     hidden_group_size_z
      - .offset:         98
        .size:           2
        .value_kind:     hidden_remainder_x
      - .offset:         100
        .size:           2
        .value_kind:     hidden_remainder_y
      - .offset:         102
        .size:           2
        .value_kind:     hidden_remainder_z
      - .offset:         120
        .size:           8
        .value_kind:     hidden_global_offset_x
      - .offset:         128
        .size:           8
        .value_kind:     hidden_global_offset_y
      - .offset:         136
        .size:           8
        .value_kind:     hidden_global_offset_z
      - .offset:         144
        .size:           2
        .value_kind:     hidden_grid_dims
    .group_segment_fixed_size: 0
    .kernarg_segment_align: 8
    .kernarg_segment_size: 336
    .language:       OpenCL C
    .language_version:
      - 2
      - 0
    .max_flat_workgroup_size: 128
    .name:           _ZL33flash_attn_stream_k_fixup_generalILi128ELi1ELi8EEvPfPK15HIP_vector_typeIfLj2EEiiiiS1_IjLj3EES5_S5_S5_
    .private_segment_fixed_size: 0
    .sgpr_count:     34
    .sgpr_spill_count: 0
    .symbol:         _ZL33flash_attn_stream_k_fixup_generalILi128ELi1ELi8EEvPfPK15HIP_vector_typeIfLj2EEiiiiS1_IjLj3EES5_S5_S5_.kd
    .uniform_work_group_size: 1
    .uses_dynamic_stack: false
    .vgpr_count:     19
    .vgpr_spill_count: 0
    .wavefront_size: 32
    .workgroup_processor_mode: 1
  - .args:
      - .address_space:  global
        .offset:         0
        .size:           8
        .value_kind:     global_buffer
      - .address_space:  global
        .offset:         8
        .size:           8
        .value_kind:     global_buffer
      - .address_space:  global
        .offset:         16
        .size:           8
        .value_kind:     global_buffer
      - .address_space:  global
        .offset:         24
        .size:           8
        .value_kind:     global_buffer
      - .address_space:  global
        .offset:         32
        .size:           8
        .value_kind:     global_buffer
      - .address_space:  global
        .offset:         40
        .size:           8
        .value_kind:     global_buffer
      - .address_space:  global
        .offset:         48
        .size:           8
        .value_kind:     global_buffer
      - .address_space:  global
        .offset:         56
        .size:           8
        .value_kind:     global_buffer
      - .offset:         64
        .size:           4
        .value_kind:     by_value
      - .offset:         68
        .size:           4
        .value_kind:     by_value
      - .offset:         72
        .size:           4
        .value_kind:     by_value
      - .offset:         76
        .size:           4
        .value_kind:     by_value
      - .offset:         80
        .size:           4
        .value_kind:     by_value
      - .offset:         84
        .size:           4
        .value_kind:     by_value
      - .offset:         88
        .size:           4
        .value_kind:     by_value
      - .offset:         92
        .size:           12
        .value_kind:     by_value
      - .offset:         104
        .size:           4
        .value_kind:     by_value
      - .offset:         108
        .size:           4
        .value_kind:     by_value
      - .offset:         112
        .size:           4
        .value_kind:     by_value
      - .offset:         116
        .size:           4
        .value_kind:     by_value
      - .offset:         120
        .size:           4
        .value_kind:     by_value
      - .offset:         124
        .size:           4
        .value_kind:     by_value
      - .offset:         128
        .size:           4
        .value_kind:     by_value
      - .offset:         132
        .size:           4
        .value_kind:     by_value
      - .offset:         136
        .size:           4
        .value_kind:     by_value
      - .offset:         140
        .size:           4
        .value_kind:     by_value
      - .offset:         144
        .size:           4
        .value_kind:     by_value
      - .offset:         152
        .size:           8
        .value_kind:     by_value
      - .offset:         160
        .size:           4
        .value_kind:     by_value
      - .offset:         164
        .size:           4
        .value_kind:     by_value
      - .offset:         168
        .size:           8
        .value_kind:     by_value
      - .offset:         176
        .size:           4
        .value_kind:     by_value
      - .offset:         180
        .size:           4
        .value_kind:     by_value
      - .offset:         184
        .size:           4
        .value_kind:     by_value
      - .offset:         188
        .size:           4
        .value_kind:     by_value
      - .offset:         192
        .size:           4
        .value_kind:     by_value
      - .offset:         200
        .size:           8
        .value_kind:     by_value
      - .offset:         208
        .size:           4
        .value_kind:     hidden_block_count_x
      - .offset:         212
        .size:           4
        .value_kind:     hidden_block_count_y
      - .offset:         216
        .size:           4
        .value_kind:     hidden_block_count_z
      - .offset:         220
        .size:           2
        .value_kind:     hidden_group_size_x
      - .offset:         222
        .size:           2
        .value_kind:     hidden_group_size_y
      - .offset:         224
        .size:           2
        .value_kind:     hidden_group_size_z
      - .offset:         226
        .size:           2
        .value_kind:     hidden_remainder_x
      - .offset:         228
        .size:           2
        .value_kind:     hidden_remainder_y
      - .offset:         230
        .size:           2
        .value_kind:     hidden_remainder_z
      - .offset:         248
        .size:           8
        .value_kind:     hidden_global_offset_x
      - .offset:         256
        .size:           8
        .value_kind:     hidden_global_offset_y
      - .offset:         264
        .size:           8
        .value_kind:     hidden_global_offset_z
      - .offset:         272
        .size:           2
        .value_kind:     hidden_grid_dims
    .group_segment_fixed_size: 25600
    .kernarg_segment_align: 8
    .kernarg_segment_size: 464
    .language:       OpenCL C
    .language_version:
      - 2
      - 0
    .max_flat_workgroup_size: 256
    .name:           _ZL15flash_attn_tileILi192ELi128ELi2ELi16ELb1EEvPKcS1_S1_S1_S1_PKiPfP15HIP_vector_typeIfLj2EEffffjfiS5_IjLj3EEiiiiiiiiiiiliiliiiiil
    .private_segment_fixed_size: 0
    .sgpr_count:     42
    .sgpr_spill_count: 0
    .symbol:         _ZL15flash_attn_tileILi192ELi128ELi2ELi16ELb1EEvPKcS1_S1_S1_S1_PKiPfP15HIP_vector_typeIfLj2EEffffjfiS5_IjLj3EEiiiiiiiiiiiliiliiiiil.kd
    .uniform_work_group_size: 1
    .uses_dynamic_stack: false
    .vgpr_count:     187
    .vgpr_spill_count: 0
    .wavefront_size: 32
    .workgroup_processor_mode: 1
  - .args:
      - .address_space:  global
        .offset:         0
        .size:           8
        .value_kind:     global_buffer
      - .address_space:  global
        .offset:         8
        .size:           8
        .value_kind:     global_buffer
      - .address_space:  global
        .offset:         16
        .size:           8
        .value_kind:     global_buffer
      - .address_space:  global
        .offset:         24
        .size:           8
        .value_kind:     global_buffer
      - .address_space:  global
        .offset:         32
        .size:           8
        .value_kind:     global_buffer
      - .address_space:  global
        .offset:         40
        .size:           8
        .value_kind:     global_buffer
      - .address_space:  global
        .offset:         48
        .size:           8
        .value_kind:     global_buffer
      - .address_space:  global
        .offset:         56
        .size:           8
        .value_kind:     global_buffer
      - .offset:         64
        .size:           4
        .value_kind:     by_value
      - .offset:         68
        .size:           4
        .value_kind:     by_value
      - .offset:         72
        .size:           4
        .value_kind:     by_value
      - .offset:         76
        .size:           4
        .value_kind:     by_value
      - .offset:         80
        .size:           4
        .value_kind:     by_value
      - .offset:         84
        .size:           4
        .value_kind:     by_value
      - .offset:         88
        .size:           4
        .value_kind:     by_value
      - .offset:         92
        .size:           12
        .value_kind:     by_value
      - .offset:         104
        .size:           4
        .value_kind:     by_value
      - .offset:         108
        .size:           4
        .value_kind:     by_value
      - .offset:         112
        .size:           4
        .value_kind:     by_value
      - .offset:         116
        .size:           4
        .value_kind:     by_value
      - .offset:         120
        .size:           4
        .value_kind:     by_value
      - .offset:         124
        .size:           4
        .value_kind:     by_value
      - .offset:         128
        .size:           4
        .value_kind:     by_value
      - .offset:         132
        .size:           4
        .value_kind:     by_value
      - .offset:         136
        .size:           4
        .value_kind:     by_value
      - .offset:         140
        .size:           4
        .value_kind:     by_value
      - .offset:         144
        .size:           4
        .value_kind:     by_value
      - .offset:         152
        .size:           8
        .value_kind:     by_value
      - .offset:         160
        .size:           4
        .value_kind:     by_value
      - .offset:         164
        .size:           4
        .value_kind:     by_value
      - .offset:         168
        .size:           8
        .value_kind:     by_value
      - .offset:         176
        .size:           4
        .value_kind:     by_value
      - .offset:         180
        .size:           4
        .value_kind:     by_value
      - .offset:         184
        .size:           4
        .value_kind:     by_value
      - .offset:         188
        .size:           4
        .value_kind:     by_value
      - .offset:         192
        .size:           4
        .value_kind:     by_value
      - .offset:         200
        .size:           8
        .value_kind:     by_value
      - .offset:         208
        .size:           4
        .value_kind:     hidden_block_count_x
      - .offset:         212
        .size:           4
        .value_kind:     hidden_block_count_y
      - .offset:         216
        .size:           4
        .value_kind:     hidden_block_count_z
      - .offset:         220
        .size:           2
        .value_kind:     hidden_group_size_x
      - .offset:         222
        .size:           2
        .value_kind:     hidden_group_size_y
      - .offset:         224
        .size:           2
        .value_kind:     hidden_group_size_z
      - .offset:         226
        .size:           2
        .value_kind:     hidden_remainder_x
      - .offset:         228
        .size:           2
        .value_kind:     hidden_remainder_y
      - .offset:         230
        .size:           2
        .value_kind:     hidden_remainder_z
      - .offset:         248
        .size:           8
        .value_kind:     hidden_global_offset_x
      - .offset:         256
        .size:           8
        .value_kind:     hidden_global_offset_y
      - .offset:         264
        .size:           8
        .value_kind:     hidden_global_offset_z
      - .offset:         272
        .size:           2
        .value_kind:     hidden_grid_dims
    .group_segment_fixed_size: 11776
    .kernarg_segment_align: 8
    .kernarg_segment_size: 464
    .language:       OpenCL C
    .language_version:
      - 2
      - 0
    .max_flat_workgroup_size: 256
    .name:           _ZL15flash_attn_tileILi192ELi128ELi1ELi16ELb1EEvPKcS1_S1_S1_S1_PKiPfP15HIP_vector_typeIfLj2EEffffjfiS5_IjLj3EEiiiiiiiiiiiliiliiiiil
    .private_segment_fixed_size: 0
    .sgpr_count:     42
    .sgpr_spill_count: 0
    .symbol:         _ZL15flash_attn_tileILi192ELi128ELi1ELi16ELb1EEvPKcS1_S1_S1_S1_PKiPfP15HIP_vector_typeIfLj2EEffffjfiS5_IjLj3EEiiiiiiiiiiiliiliiiiil.kd
    .uniform_work_group_size: 1
    .uses_dynamic_stack: false
    .vgpr_count:     94
    .vgpr_spill_count: 0
    .wavefront_size: 32
    .workgroup_processor_mode: 1
  - .args:
      - .address_space:  global
        .offset:         0
        .size:           8
        .value_kind:     global_buffer
      - .address_space:  global
        .offset:         8
        .size:           8
        .value_kind:     global_buffer
      - .address_space:  global
        .offset:         16
        .size:           8
        .value_kind:     global_buffer
      - .address_space:  global
        .offset:         24
        .size:           8
        .value_kind:     global_buffer
      - .address_space:  global
        .offset:         32
        .size:           8
        .value_kind:     global_buffer
      - .address_space:  global
        .offset:         40
        .size:           8
        .value_kind:     global_buffer
      - .address_space:  global
        .offset:         48
        .size:           8
        .value_kind:     global_buffer
      - .address_space:  global
        .offset:         56
        .size:           8
        .value_kind:     global_buffer
      - .offset:         64
        .size:           4
        .value_kind:     by_value
      - .offset:         68
        .size:           4
        .value_kind:     by_value
      - .offset:         72
        .size:           4
        .value_kind:     by_value
      - .offset:         76
        .size:           4
        .value_kind:     by_value
      - .offset:         80
        .size:           4
        .value_kind:     by_value
      - .offset:         84
        .size:           4
        .value_kind:     by_value
      - .offset:         88
        .size:           4
        .value_kind:     by_value
      - .offset:         92
        .size:           12
        .value_kind:     by_value
      - .offset:         104
        .size:           4
        .value_kind:     by_value
      - .offset:         108
        .size:           4
        .value_kind:     by_value
      - .offset:         112
        .size:           4
        .value_kind:     by_value
      - .offset:         116
        .size:           4
        .value_kind:     by_value
      - .offset:         120
        .size:           4
        .value_kind:     by_value
      - .offset:         124
        .size:           4
        .value_kind:     by_value
      - .offset:         128
        .size:           4
        .value_kind:     by_value
      - .offset:         132
        .size:           4
        .value_kind:     by_value
      - .offset:         136
        .size:           4
        .value_kind:     by_value
      - .offset:         140
        .size:           4
        .value_kind:     by_value
      - .offset:         144
        .size:           4
        .value_kind:     by_value
      - .offset:         152
        .size:           8
        .value_kind:     by_value
      - .offset:         160
        .size:           4
        .value_kind:     by_value
      - .offset:         164
        .size:           4
        .value_kind:     by_value
      - .offset:         168
        .size:           8
        .value_kind:     by_value
      - .offset:         176
        .size:           4
        .value_kind:     by_value
      - .offset:         180
        .size:           4
        .value_kind:     by_value
      - .offset:         184
        .size:           4
        .value_kind:     by_value
      - .offset:         188
        .size:           4
        .value_kind:     by_value
      - .offset:         192
        .size:           4
        .value_kind:     by_value
      - .offset:         200
        .size:           8
        .value_kind:     by_value
      - .offset:         208
        .size:           4
        .value_kind:     hidden_block_count_x
      - .offset:         212
        .size:           4
        .value_kind:     hidden_block_count_y
      - .offset:         216
        .size:           4
        .value_kind:     hidden_block_count_z
      - .offset:         220
        .size:           2
        .value_kind:     hidden_group_size_x
      - .offset:         222
        .size:           2
        .value_kind:     hidden_group_size_y
      - .offset:         224
        .size:           2
        .value_kind:     hidden_group_size_z
      - .offset:         226
        .size:           2
        .value_kind:     hidden_remainder_x
      - .offset:         228
        .size:           2
        .value_kind:     hidden_remainder_y
      - .offset:         230
        .size:           2
        .value_kind:     hidden_remainder_z
      - .offset:         248
        .size:           8
        .value_kind:     hidden_global_offset_x
      - .offset:         256
        .size:           8
        .value_kind:     hidden_global_offset_y
      - .offset:         264
        .size:           8
        .value_kind:     hidden_global_offset_z
      - .offset:         272
        .size:           2
        .value_kind:     hidden_grid_dims
    .group_segment_fixed_size: 25600
    .kernarg_segment_align: 8
    .kernarg_segment_size: 464
    .language:       OpenCL C
    .language_version:
      - 2
      - 0
    .max_flat_workgroup_size: 256
    .name:           _ZL15flash_attn_tileILi192ELi128ELi4ELi8ELb1EEvPKcS1_S1_S1_S1_PKiPfP15HIP_vector_typeIfLj2EEffffjfiS5_IjLj3EEiiiiiiiiiiiliiliiiiil
    .private_segment_fixed_size: 0
    .sgpr_count:     42
    .sgpr_spill_count: 0
    .symbol:         _ZL15flash_attn_tileILi192ELi128ELi4ELi8ELb1EEvPKcS1_S1_S1_S1_PKiPfP15HIP_vector_typeIfLj2EEffffjfiS5_IjLj3EEiiiiiiiiiiiliiliiiiil.kd
    .uniform_work_group_size: 1
    .uses_dynamic_stack: false
    .vgpr_count:     187
    .vgpr_spill_count: 0
    .wavefront_size: 32
    .workgroup_processor_mode: 1
  - .args:
      - .address_space:  global
        .offset:         0
        .size:           8
        .value_kind:     global_buffer
      - .address_space:  global
        .offset:         8
        .size:           8
        .value_kind:     global_buffer
      - .address_space:  global
        .offset:         16
        .size:           8
        .value_kind:     global_buffer
      - .address_space:  global
        .offset:         24
        .size:           8
        .value_kind:     global_buffer
      - .address_space:  global
        .offset:         32
        .size:           8
        .value_kind:     global_buffer
      - .address_space:  global
        .offset:         40
        .size:           8
        .value_kind:     global_buffer
      - .address_space:  global
        .offset:         48
        .size:           8
        .value_kind:     global_buffer
      - .address_space:  global
        .offset:         56
        .size:           8
        .value_kind:     global_buffer
      - .offset:         64
        .size:           4
        .value_kind:     by_value
      - .offset:         68
        .size:           4
        .value_kind:     by_value
      - .offset:         72
        .size:           4
        .value_kind:     by_value
      - .offset:         76
        .size:           4
        .value_kind:     by_value
      - .offset:         80
        .size:           4
        .value_kind:     by_value
      - .offset:         84
        .size:           4
        .value_kind:     by_value
      - .offset:         88
        .size:           4
        .value_kind:     by_value
      - .offset:         92
        .size:           12
        .value_kind:     by_value
      - .offset:         104
        .size:           4
        .value_kind:     by_value
      - .offset:         108
        .size:           4
        .value_kind:     by_value
      - .offset:         112
        .size:           4
        .value_kind:     by_value
      - .offset:         116
        .size:           4
        .value_kind:     by_value
      - .offset:         120
        .size:           4
        .value_kind:     by_value
      - .offset:         124
        .size:           4
        .value_kind:     by_value
      - .offset:         128
        .size:           4
        .value_kind:     by_value
      - .offset:         132
        .size:           4
        .value_kind:     by_value
      - .offset:         136
        .size:           4
        .value_kind:     by_value
      - .offset:         140
        .size:           4
        .value_kind:     by_value
      - .offset:         144
        .size:           4
        .value_kind:     by_value
      - .offset:         152
        .size:           8
        .value_kind:     by_value
      - .offset:         160
        .size:           4
        .value_kind:     by_value
      - .offset:         164
        .size:           4
        .value_kind:     by_value
      - .offset:         168
        .size:           8
        .value_kind:     by_value
      - .offset:         176
        .size:           4
        .value_kind:     by_value
      - .offset:         180
        .size:           4
        .value_kind:     by_value
      - .offset:         184
        .size:           4
        .value_kind:     by_value
      - .offset:         188
        .size:           4
        .value_kind:     by_value
      - .offset:         192
        .size:           4
        .value_kind:     by_value
      - .offset:         200
        .size:           8
        .value_kind:     by_value
      - .offset:         208
        .size:           4
        .value_kind:     hidden_block_count_x
      - .offset:         212
        .size:           4
        .value_kind:     hidden_block_count_y
      - .offset:         216
        .size:           4
        .value_kind:     hidden_block_count_z
      - .offset:         220
        .size:           2
        .value_kind:     hidden_group_size_x
      - .offset:         222
        .size:           2
        .value_kind:     hidden_group_size_y
      - .offset:         224
        .size:           2
        .value_kind:     hidden_group_size_z
      - .offset:         226
        .size:           2
        .value_kind:     hidden_remainder_x
      - .offset:         228
        .size:           2
        .value_kind:     hidden_remainder_y
      - .offset:         230
        .size:           2
        .value_kind:     hidden_remainder_z
      - .offset:         248
        .size:           8
        .value_kind:     hidden_global_offset_x
      - .offset:         256
        .size:           8
        .value_kind:     hidden_global_offset_y
      - .offset:         264
        .size:           8
        .value_kind:     hidden_global_offset_z
      - .offset:         272
        .size:           2
        .value_kind:     hidden_grid_dims
    .group_segment_fixed_size: 11776
    .kernarg_segment_align: 8
    .kernarg_segment_size: 464
    .language:       OpenCL C
    .language_version:
      - 2
      - 0
    .max_flat_workgroup_size: 256
    .name:           _ZL15flash_attn_tileILi192ELi128ELi2ELi8ELb1EEvPKcS1_S1_S1_S1_PKiPfP15HIP_vector_typeIfLj2EEffffjfiS5_IjLj3EEiiiiiiiiiiiliiliiiiil
    .private_segment_fixed_size: 0
    .sgpr_count:     42
    .sgpr_spill_count: 0
    .symbol:         _ZL15flash_attn_tileILi192ELi128ELi2ELi8ELb1EEvPKcS1_S1_S1_S1_PKiPfP15HIP_vector_typeIfLj2EEffffjfiS5_IjLj3EEiiiiiiiiiiiliiliiiiil.kd
    .uniform_work_group_size: 1
    .uses_dynamic_stack: false
    .vgpr_count:     94
    .vgpr_spill_count: 0
    .wavefront_size: 32
    .workgroup_processor_mode: 1
  - .args:
      - .address_space:  global
        .offset:         0
        .size:           8
        .value_kind:     global_buffer
      - .address_space:  global
        .offset:         8
        .size:           8
        .value_kind:     global_buffer
      - .address_space:  global
        .offset:         16
        .size:           8
        .value_kind:     global_buffer
      - .address_space:  global
        .offset:         24
        .size:           8
        .value_kind:     global_buffer
      - .address_space:  global
        .offset:         32
        .size:           8
        .value_kind:     global_buffer
      - .address_space:  global
        .offset:         40
        .size:           8
        .value_kind:     global_buffer
      - .address_space:  global
        .offset:         48
        .size:           8
        .value_kind:     global_buffer
      - .address_space:  global
        .offset:         56
        .size:           8
        .value_kind:     global_buffer
      - .offset:         64
        .size:           4
        .value_kind:     by_value
      - .offset:         68
        .size:           4
        .value_kind:     by_value
      - .offset:         72
        .size:           4
        .value_kind:     by_value
      - .offset:         76
        .size:           4
        .value_kind:     by_value
      - .offset:         80
        .size:           4
        .value_kind:     by_value
      - .offset:         84
        .size:           4
        .value_kind:     by_value
      - .offset:         88
        .size:           4
        .value_kind:     by_value
      - .offset:         92
        .size:           12
        .value_kind:     by_value
      - .offset:         104
        .size:           4
        .value_kind:     by_value
      - .offset:         108
        .size:           4
        .value_kind:     by_value
      - .offset:         112
        .size:           4
        .value_kind:     by_value
      - .offset:         116
        .size:           4
        .value_kind:     by_value
      - .offset:         120
        .size:           4
        .value_kind:     by_value
      - .offset:         124
        .size:           4
        .value_kind:     by_value
      - .offset:         128
        .size:           4
        .value_kind:     by_value
      - .offset:         132
        .size:           4
        .value_kind:     by_value
      - .offset:         136
        .size:           4
        .value_kind:     by_value
      - .offset:         140
        .size:           4
        .value_kind:     by_value
      - .offset:         144
        .size:           4
        .value_kind:     by_value
      - .offset:         152
        .size:           8
        .value_kind:     by_value
      - .offset:         160
        .size:           4
        .value_kind:     by_value
      - .offset:         164
        .size:           4
        .value_kind:     by_value
      - .offset:         168
        .size:           8
        .value_kind:     by_value
      - .offset:         176
        .size:           4
        .value_kind:     by_value
      - .offset:         180
        .size:           4
        .value_kind:     by_value
      - .offset:         184
        .size:           4
        .value_kind:     by_value
      - .offset:         188
        .size:           4
        .value_kind:     by_value
      - .offset:         192
        .size:           4
        .value_kind:     by_value
      - .offset:         200
        .size:           8
        .value_kind:     by_value
      - .offset:         208
        .size:           4
        .value_kind:     hidden_block_count_x
      - .offset:         212
        .size:           4
        .value_kind:     hidden_block_count_y
      - .offset:         216
        .size:           4
        .value_kind:     hidden_block_count_z
      - .offset:         220
        .size:           2
        .value_kind:     hidden_group_size_x
      - .offset:         222
        .size:           2
        .value_kind:     hidden_group_size_y
      - .offset:         224
        .size:           2
        .value_kind:     hidden_group_size_z
      - .offset:         226
        .size:           2
        .value_kind:     hidden_remainder_x
      - .offset:         228
        .size:           2
        .value_kind:     hidden_remainder_y
      - .offset:         230
        .size:           2
        .value_kind:     hidden_remainder_z
      - .offset:         248
        .size:           8
        .value_kind:     hidden_global_offset_x
      - .offset:         256
        .size:           8
        .value_kind:     hidden_global_offset_y
      - .offset:         264
        .size:           8
        .value_kind:     hidden_global_offset_z
      - .offset:         272
        .size:           2
        .value_kind:     hidden_grid_dims
    .group_segment_fixed_size: 8192
    .kernarg_segment_align: 8
    .kernarg_segment_size: 464
    .language:       OpenCL C
    .language_version:
      - 2
      - 0
    .max_flat_workgroup_size: 128
    .name:           _ZL15flash_attn_tileILi192ELi128ELi1ELi8ELb1EEvPKcS1_S1_S1_S1_PKiPfP15HIP_vector_typeIfLj2EEffffjfiS5_IjLj3EEiiiiiiiiiiiliiliiiiil
    .private_segment_fixed_size: 0
    .sgpr_count:     42
    .sgpr_spill_count: 0
    .symbol:         _ZL15flash_attn_tileILi192ELi128ELi1ELi8ELb1EEvPKcS1_S1_S1_S1_PKiPfP15HIP_vector_typeIfLj2EEffffjfiS5_IjLj3EEiiiiiiiiiiiliiliiiiil.kd
    .uniform_work_group_size: 1
    .uses_dynamic_stack: false
    .vgpr_count:     106
    .vgpr_spill_count: 0
    .wavefront_size: 32
    .workgroup_processor_mode: 1
amdhsa.target:   amdgcn-amd-amdhsa--gfx1100
amdhsa.version:
  - 1
  - 2
...

	.end_amdgpu_metadata
